;; amdgpu-corpus repo=ROCm/rocFFT kind=compiled arch=gfx1030 opt=O3
	.text
	.amdgcn_target "amdgcn-amd-amdhsa--gfx1030"
	.amdhsa_code_object_version 6
	.protected	fft_rtc_fwd_len952_factors_17_4_2_7_wgs_204_tpt_68_halfLds_dp_ip_CI_unitstride_sbrr_R2C_dirReg ; -- Begin function fft_rtc_fwd_len952_factors_17_4_2_7_wgs_204_tpt_68_halfLds_dp_ip_CI_unitstride_sbrr_R2C_dirReg
	.globl	fft_rtc_fwd_len952_factors_17_4_2_7_wgs_204_tpt_68_halfLds_dp_ip_CI_unitstride_sbrr_R2C_dirReg
	.p2align	8
	.type	fft_rtc_fwd_len952_factors_17_4_2_7_wgs_204_tpt_68_halfLds_dp_ip_CI_unitstride_sbrr_R2C_dirReg,@function
fft_rtc_fwd_len952_factors_17_4_2_7_wgs_204_tpt_68_halfLds_dp_ip_CI_unitstride_sbrr_R2C_dirReg: ; @fft_rtc_fwd_len952_factors_17_4_2_7_wgs_204_tpt_68_halfLds_dp_ip_CI_unitstride_sbrr_R2C_dirReg
; %bb.0:
	s_load_dwordx4 s[8:11], s[4:5], 0x0
	v_mul_u32_u24_e32 v1, 0x3c4, v0
	s_mov_b64 s[58:59], s[2:3]
	s_mov_b64 s[56:57], s[0:1]
	s_clause 0x1
	s_load_dwordx2 s[2:3], s[4:5], 0x50
	s_load_dwordx2 s[12:13], s[4:5], 0x18
	v_mov_b32_e32 v5, 0
	v_lshrrev_b32_e32 v1, 16, v1
	v_mov_b32_e32 v3, 0
	v_mov_b32_e32 v4, 0
	s_add_u32 s56, s56, s7
	s_addc_u32 s57, s57, 0
	v_mad_u64_u32 v[1:2], null, s6, 3, v[1:2]
	v_mov_b32_e32 v2, v5
	v_mov_b32_e32 v10, v2
	;; [unrolled: 1-line block ×3, first 2 shown]
	s_waitcnt lgkmcnt(0)
	v_cmp_lt_u64_e64 s0, s[10:11], 2
	s_and_b32 vcc_lo, exec_lo, s0
	s_cbranch_vccnz .LBB0_8
; %bb.1:
	s_load_dwordx2 s[0:1], s[4:5], 0x10
	v_mov_b32_e32 v3, 0
	v_mov_b32_e32 v8, v2
	s_add_u32 s6, s12, 8
	v_mov_b32_e32 v4, 0
	v_mov_b32_e32 v7, v1
	s_addc_u32 s7, s13, 0
	s_mov_b64 s[16:17], 1
	s_waitcnt lgkmcnt(0)
	s_add_u32 s14, s0, 8
	s_addc_u32 s15, s1, 0
.LBB0_2:                                ; =>This Inner Loop Header: Depth=1
	s_load_dwordx2 s[18:19], s[14:15], 0x0
                                        ; implicit-def: $vgpr9_vgpr10
	s_mov_b32 s0, exec_lo
	s_waitcnt lgkmcnt(0)
	v_or_b32_e32 v6, s19, v8
	v_cmpx_ne_u64_e32 0, v[5:6]
	s_xor_b32 s1, exec_lo, s0
	s_cbranch_execz .LBB0_4
; %bb.3:                                ;   in Loop: Header=BB0_2 Depth=1
	v_cvt_f32_u32_e32 v2, s18
	v_cvt_f32_u32_e32 v6, s19
	s_sub_u32 s0, 0, s18
	s_subb_u32 s20, 0, s19
	v_fmac_f32_e32 v2, 0x4f800000, v6
	v_rcp_f32_e32 v2, v2
	v_mul_f32_e32 v2, 0x5f7ffffc, v2
	v_mul_f32_e32 v6, 0x2f800000, v2
	v_trunc_f32_e32 v6, v6
	v_fmac_f32_e32 v2, 0xcf800000, v6
	v_cvt_u32_f32_e32 v6, v6
	v_cvt_u32_f32_e32 v2, v2
	v_mul_lo_u32 v9, s0, v6
	v_mul_hi_u32 v10, s0, v2
	v_mul_lo_u32 v11, s20, v2
	v_add_nc_u32_e32 v9, v10, v9
	v_mul_lo_u32 v10, s0, v2
	v_add_nc_u32_e32 v9, v9, v11
	v_mul_hi_u32 v11, v2, v10
	v_mul_lo_u32 v12, v2, v9
	v_mul_hi_u32 v13, v2, v9
	v_mul_hi_u32 v14, v6, v10
	v_mul_lo_u32 v10, v6, v10
	v_mul_hi_u32 v15, v6, v9
	v_mul_lo_u32 v9, v6, v9
	v_add_co_u32 v11, vcc_lo, v11, v12
	v_add_co_ci_u32_e32 v12, vcc_lo, 0, v13, vcc_lo
	v_add_co_u32 v10, vcc_lo, v11, v10
	v_add_co_ci_u32_e32 v10, vcc_lo, v12, v14, vcc_lo
	v_add_co_ci_u32_e32 v11, vcc_lo, 0, v15, vcc_lo
	v_add_co_u32 v9, vcc_lo, v10, v9
	v_add_co_ci_u32_e32 v10, vcc_lo, 0, v11, vcc_lo
	v_add_co_u32 v2, vcc_lo, v2, v9
	v_add_co_ci_u32_e32 v6, vcc_lo, v6, v10, vcc_lo
	v_mul_hi_u32 v9, s0, v2
	v_mul_lo_u32 v11, s20, v2
	v_mul_lo_u32 v10, s0, v6
	v_add_nc_u32_e32 v9, v9, v10
	v_mul_lo_u32 v10, s0, v2
	v_add_nc_u32_e32 v9, v9, v11
	v_mul_hi_u32 v11, v2, v10
	v_mul_lo_u32 v12, v2, v9
	v_mul_hi_u32 v13, v2, v9
	v_mul_hi_u32 v14, v6, v10
	v_mul_lo_u32 v10, v6, v10
	v_mul_hi_u32 v15, v6, v9
	v_mul_lo_u32 v9, v6, v9
	v_add_co_u32 v11, vcc_lo, v11, v12
	v_add_co_ci_u32_e32 v12, vcc_lo, 0, v13, vcc_lo
	v_add_co_u32 v10, vcc_lo, v11, v10
	v_add_co_ci_u32_e32 v10, vcc_lo, v12, v14, vcc_lo
	v_add_co_ci_u32_e32 v11, vcc_lo, 0, v15, vcc_lo
	v_add_co_u32 v9, vcc_lo, v10, v9
	v_add_co_ci_u32_e32 v10, vcc_lo, 0, v11, vcc_lo
	v_add_co_u32 v2, vcc_lo, v2, v9
	v_add_co_ci_u32_e32 v6, vcc_lo, v6, v10, vcc_lo
	v_mul_hi_u32 v15, v7, v2
	v_mad_u64_u32 v[11:12], null, v8, v2, 0
	v_mad_u64_u32 v[9:10], null, v7, v6, 0
	;; [unrolled: 1-line block ×3, first 2 shown]
	v_add_co_u32 v2, vcc_lo, v15, v9
	v_add_co_ci_u32_e32 v6, vcc_lo, 0, v10, vcc_lo
	v_add_co_u32 v2, vcc_lo, v2, v11
	v_add_co_ci_u32_e32 v2, vcc_lo, v6, v12, vcc_lo
	v_add_co_ci_u32_e32 v6, vcc_lo, 0, v14, vcc_lo
	v_add_co_u32 v2, vcc_lo, v2, v13
	v_add_co_ci_u32_e32 v6, vcc_lo, 0, v6, vcc_lo
	v_mul_lo_u32 v11, s19, v2
	v_mad_u64_u32 v[9:10], null, s18, v2, 0
	v_mul_lo_u32 v12, s18, v6
	v_sub_co_u32 v9, vcc_lo, v7, v9
	v_add3_u32 v10, v10, v12, v11
	v_sub_nc_u32_e32 v11, v8, v10
	v_subrev_co_ci_u32_e64 v11, s0, s19, v11, vcc_lo
	v_add_co_u32 v12, s0, v2, 2
	v_add_co_ci_u32_e64 v13, s0, 0, v6, s0
	v_sub_co_u32 v14, s0, v9, s18
	v_sub_co_ci_u32_e32 v10, vcc_lo, v8, v10, vcc_lo
	v_subrev_co_ci_u32_e64 v11, s0, 0, v11, s0
	v_cmp_le_u32_e32 vcc_lo, s18, v14
	v_cmp_eq_u32_e64 s0, s19, v10
	v_cndmask_b32_e64 v14, 0, -1, vcc_lo
	v_cmp_le_u32_e32 vcc_lo, s19, v11
	v_cndmask_b32_e64 v15, 0, -1, vcc_lo
	v_cmp_le_u32_e32 vcc_lo, s18, v9
	v_cndmask_b32_e64 v9, 0, -1, vcc_lo
	v_cmp_le_u32_e32 vcc_lo, s19, v10
	v_cndmask_b32_e64 v16, 0, -1, vcc_lo
	v_cmp_eq_u32_e32 vcc_lo, s19, v11
	v_cndmask_b32_e64 v9, v16, v9, s0
	v_cndmask_b32_e32 v11, v15, v14, vcc_lo
	v_add_co_u32 v14, vcc_lo, v2, 1
	v_add_co_ci_u32_e32 v15, vcc_lo, 0, v6, vcc_lo
	v_cmp_ne_u32_e32 vcc_lo, 0, v11
	v_cndmask_b32_e32 v10, v15, v13, vcc_lo
	v_cndmask_b32_e32 v11, v14, v12, vcc_lo
	v_cmp_ne_u32_e32 vcc_lo, 0, v9
	v_cndmask_b32_e32 v10, v6, v10, vcc_lo
	v_cndmask_b32_e32 v9, v2, v11, vcc_lo
.LBB0_4:                                ;   in Loop: Header=BB0_2 Depth=1
	s_andn2_saveexec_b32 s0, s1
	s_cbranch_execz .LBB0_6
; %bb.5:                                ;   in Loop: Header=BB0_2 Depth=1
	v_cvt_f32_u32_e32 v2, s18
	s_sub_i32 s1, 0, s18
	v_rcp_iflag_f32_e32 v2, v2
	v_mul_f32_e32 v2, 0x4f7ffffe, v2
	v_cvt_u32_f32_e32 v2, v2
	v_mul_lo_u32 v6, s1, v2
	v_mul_hi_u32 v6, v2, v6
	v_add_nc_u32_e32 v2, v2, v6
	v_mul_hi_u32 v2, v7, v2
	v_mul_lo_u32 v6, v2, s18
	v_add_nc_u32_e32 v9, 1, v2
	v_sub_nc_u32_e32 v6, v7, v6
	v_subrev_nc_u32_e32 v10, s18, v6
	v_cmp_le_u32_e32 vcc_lo, s18, v6
	v_cndmask_b32_e32 v6, v6, v10, vcc_lo
	v_cndmask_b32_e32 v2, v2, v9, vcc_lo
	v_mov_b32_e32 v10, v5
	v_cmp_le_u32_e32 vcc_lo, s18, v6
	v_add_nc_u32_e32 v9, 1, v2
	v_cndmask_b32_e32 v9, v2, v9, vcc_lo
.LBB0_6:                                ;   in Loop: Header=BB0_2 Depth=1
	s_or_b32 exec_lo, exec_lo, s0
	s_load_dwordx2 s[0:1], s[6:7], 0x0
	v_mul_lo_u32 v2, v10, s18
	v_mul_lo_u32 v6, v9, s19
	v_mad_u64_u32 v[11:12], null, v9, s18, 0
	s_add_u32 s16, s16, 1
	s_addc_u32 s17, s17, 0
	s_add_u32 s6, s6, 8
	s_addc_u32 s7, s7, 0
	;; [unrolled: 2-line block ×3, first 2 shown]
	v_add3_u32 v2, v12, v6, v2
	v_sub_co_u32 v6, vcc_lo, v7, v11
	v_sub_co_ci_u32_e32 v2, vcc_lo, v8, v2, vcc_lo
	s_waitcnt lgkmcnt(0)
	v_mul_lo_u32 v7, s1, v6
	v_mul_lo_u32 v2, s0, v2
	v_mad_u64_u32 v[3:4], null, s0, v6, v[3:4]
	v_cmp_ge_u64_e64 s0, s[16:17], s[10:11]
	s_and_b32 vcc_lo, exec_lo, s0
	v_add3_u32 v4, v7, v4, v2
	s_cbranch_vccnz .LBB0_8
; %bb.7:                                ;   in Loop: Header=BB0_2 Depth=1
	v_mov_b32_e32 v7, v9
	v_mov_b32_e32 v8, v10
	s_branch .LBB0_2
.LBB0_8:
	s_lshl_b64 s[0:1], s[10:11], 3
	v_mul_hi_u32 v2, 0xaaaaaaab, v1
	s_add_u32 s0, s12, s0
	s_addc_u32 s1, s13, s1
	s_load_dwordx2 s[4:5], s[4:5], 0x20
	s_load_dwordx2 s[0:1], s[0:1], 0x0
	v_mul_hi_u32 v5, 0x3c3c3c4, v0
	v_lshrrev_b32_e32 v2, 1, v2
	v_lshl_add_u32 v6, v2, 1, v2
	v_sub_nc_u32_e32 v1, v1, v6
	s_waitcnt lgkmcnt(0)
	v_cmp_gt_u64_e32 vcc_lo, s[4:5], v[9:10]
	v_mul_lo_u32 v7, s0, v10
	v_mul_lo_u32 v8, s1, v9
	v_mad_u64_u32 v[2:3], null, s0, v9, v[3:4]
	v_mul_u32_u24_e32 v4, 0x44, v5
	v_mul_u32_u24_e32 v1, 0x3b9, v1
	v_sub_nc_u32_e32 v84, v0, v4
	v_add3_u32 v3, v8, v3, v7
	v_lshlrev_b32_e32 v191, 4, v1
	v_lshlrev_b32_e32 v192, 4, v84
	v_lshlrev_b64 v[179:180], 4, v[2:3]
	s_and_saveexec_b32 s1, vcc_lo
	s_cbranch_execz .LBB0_10
; %bb.9:
	v_mov_b32_e32 v85, 0
	v_add_co_u32 v2, s0, s2, v179
	v_add_co_ci_u32_e64 v3, s0, s3, v180, s0
	v_lshlrev_b64 v[0:1], 4, v[84:85]
	v_add3_u32 v56, 0, v191, v192
	v_add_co_u32 v8, s0, v2, v0
	v_add_co_ci_u32_e64 v9, s0, v3, v1, s0
	s_clause 0x1
	global_load_dwordx4 v[0:3], v[8:9], off
	global_load_dwordx4 v[4:7], v[8:9], off offset:1088
	v_add_co_u32 v12, s0, 0x800, v8
	v_add_co_ci_u32_e64 v13, s0, 0, v9, s0
	v_add_co_u32 v20, s0, 0x1000, v8
	v_add_co_ci_u32_e64 v21, s0, 0, v9, s0
	;; [unrolled: 2-line block ×6, first 2 shown]
	s_clause 0xb
	global_load_dwordx4 v[8:11], v[12:13], off offset:128
	global_load_dwordx4 v[12:15], v[12:13], off offset:1216
	;; [unrolled: 1-line block ×12, first 2 shown]
	s_waitcnt vmcnt(13)
	ds_write_b128 v56, v[0:3]
	s_waitcnt vmcnt(12)
	ds_write_b128 v56, v[4:7] offset:1088
	s_waitcnt vmcnt(11)
	ds_write_b128 v56, v[8:11] offset:2176
	;; [unrolled: 2-line block ×13, first 2 shown]
.LBB0_10:
	s_or_b32 exec_lo, exec_lo, s1
	v_add_nc_u32_e32 v0, 0, v192
	s_waitcnt lgkmcnt(0)
	s_barrier
	buffer_gl0_inv
	s_mov_b32 s6, 0x2a9d6da3
	v_add_nc_u32_e32 v174, v0, v191
	s_mov_b32 s7, 0xbfe58eea
	v_add_nc_u32_e32 v255, 0, v191
	s_mov_b32 s4, 0x75d4884
	s_mov_b32 s10, 0xeb564b22
	ds_read_b128 v[16:19], v174 offset:14336
	ds_read_b128 v[44:47], v174 offset:896
	s_mov_b32 s5, 0x3fe7a5f6
	v_add_nc_u32_e32 v87, v255, v192
	ds_read_b128 v[24:27], v174 offset:13440
	ds_read_b128 v[20:23], v87
	ds_read_b128 v[48:51], v174 offset:1792
	ds_read_b128 v[52:55], v174 offset:2688
	;; [unrolled: 1-line block ×3, first 2 shown]
	s_mov_b32 s11, 0xbfefdd0d
	s_mov_b32 s12, 0x3259b75e
	;; [unrolled: 1-line block ×11, first 2 shown]
	s_waitcnt lgkmcnt(5)
	v_add_f64 v[152:153], v[46:47], -v[18:19]
	v_add_f64 v[160:161], v[44:45], -v[16:17]
	v_add_f64 v[158:159], v[44:45], v[16:17]
	v_add_f64 v[162:163], v[46:47], v[18:19]
	s_mov_b32 s22, 0x4363dd80
	s_mov_b32 s23, 0x3fe0d888
	;; [unrolled: 1-line block ×3, first 2 shown]
	s_waitcnt lgkmcnt(2)
	v_add_f64 v[96:97], v[50:51], -v[26:27]
	v_add_f64 v[90:91], v[48:49], -v[24:25]
	v_add_f64 v[88:89], v[48:49], v[24:25]
	v_add_f64 v[104:105], v[50:51], v[26:27]
	s_waitcnt lgkmcnt(0)
	v_add_f64 v[94:95], v[52:53], -v[28:29]
	v_add_f64 v[110:111], v[54:55], v[30:31]
	v_add_f64 v[102:103], v[54:55], -v[30:31]
	v_add_f64 v[92:93], v[52:53], v[28:29]
	s_mov_b32 s21, 0xbfeb34fa
	s_mov_b32 s30, 0x923c349f
	;; [unrolled: 1-line block ×7, first 2 shown]
	v_mul_f64 v[0:1], v[152:153], s[6:7]
	v_mul_f64 v[2:3], v[160:161], s[6:7]
	s_mov_b32 s38, 0x7c9e640b
	s_mov_b32 s39, 0xbfeca52d
	;; [unrolled: 1-line block ×5, first 2 shown]
	v_mul_f64 v[185:186], v[96:97], s[10:11]
	v_mul_f64 v[183:184], v[90:91], s[10:11]
	s_mov_b32 s35, 0x3fdc86fa
	s_mov_b32 s42, 0x5d8e7cdc
	v_mul_f64 v[175:176], v[94:95], s[18:19]
	s_mov_b32 s43, 0x3fd71e95
	v_mul_f64 v[181:182], v[102:103], s[18:19]
	s_mov_b32 s40, 0x370991
	s_mov_b32 s41, 0x3fedd6d0
	v_mul_f64 v[156:157], v[152:153], s[38:39]
	v_mul_f64 v[187:188], v[96:97], s[18:19]
	v_mul_f64 v[164:165], v[160:161], s[38:39]
	v_mul_f64 v[203:204], v[90:91], s[18:19]
	s_mov_b32 s45, 0x3fc7851a
	s_mov_b32 s44, s24
	buffer_store_dword v0, off, s[56:59], 0 offset:16 ; 4-byte Folded Spill
	buffer_store_dword v1, off, s[56:59], 0 offset:20 ; 4-byte Folded Spill
	;; [unrolled: 1-line block ×4, first 2 shown]
	ds_read_b128 v[32:35], v174 offset:11648
	ds_read_b128 v[56:59], v174 offset:3584
	;; [unrolled: 1-line block ×4, first 2 shown]
	v_mul_f64 v[195:196], v[102:103], s[44:45]
	v_mul_f64 v[215:216], v[94:95], s[44:45]
	s_mov_b32 s47, 0x3fe58eea
	s_mov_b32 s46, s6
	v_fma_f64 v[4:5], v[88:89], s[12:13], v[185:186]
	v_fma_f64 v[6:7], v[104:105], s[12:13], -v[183:184]
	s_mov_b32 s51, 0xbfd71e95
	s_mov_b32 s50, s42
	;; [unrolled: 1-line block ×4, first 2 shown]
	v_fma_f64 v[8:9], v[92:93], s[14:15], v[181:182]
	v_mul_f64 v[166:167], v[152:153], s[10:11]
	v_mul_f64 v[205:206], v[96:97], s[24:25]
	;; [unrolled: 1-line block ×6, first 2 shown]
	s_waitcnt lgkmcnt(2)
	v_add_f64 v[112:113], v[58:59], -v[34:35]
	v_add_f64 v[98:99], v[56:57], v[32:33]
	v_add_f64 v[100:101], v[56:57], -v[32:33]
	v_add_f64 v[114:115], v[58:59], v[34:35]
	s_waitcnt lgkmcnt(0)
	v_add_f64 v[116:117], v[66:67], -v[38:39]
	v_add_f64 v[106:107], v[64:65], v[36:37]
	v_add_f64 v[108:109], v[64:65], -v[36:37]
	v_add_f64 v[126:127], v[66:67], v[38:39]
	s_mov_b32 s49, 0x3fe9895b
	s_mov_b32 s48, s18
	v_mul_f64 v[170:171], v[152:153], s[30:31]
	v_mul_f64 v[199:200], v[96:97], s[22:23]
	;; [unrolled: 1-line block ×5, first 2 shown]
	s_mov_b32 s53, 0x3fefdd0d
	s_mov_b32 s52, s10
	v_fma_f64 v[10:11], v[88:89], s[16:17], v[205:206]
	s_mov_b32 s1, exec_lo
	v_fma_f64 v[12:13], v[104:105], s[16:17], -v[243:244]
	v_mul_f64 v[201:202], v[112:113], s[28:29]
	v_mul_f64 v[207:208], v[112:113], s[42:43]
	v_mul_f64 v[225:226], v[100:101], s[28:29]
	v_mul_f64 v[140:141], v[100:101], s[42:43]
	v_mul_f64 v[209:210], v[116:117], s[46:47]
	v_mul_f64 v[237:238], v[116:117], s[38:39]
	v_mul_f64 v[235:236], v[108:109], s[46:47]
	v_mul_f64 v[223:224], v[112:113], s[38:39]
	v_mul_f64 v[227:228], v[116:117], s[24:25]
	v_fma_f64 v[14:15], v[88:89], s[20:21], v[199:200]
	v_fma_f64 v[138:139], v[104:105], s[20:21], -v[253:254]
	v_fma_f64 v[0:1], v[158:159], s[4:5], v[0:1]
	v_fma_f64 v[2:3], v[162:163], s[4:5], -v[2:3]
	v_add_f64 v[0:1], v[20:21], v[0:1]
	v_add_f64 v[2:3], v[22:23], v[2:3]
	;; [unrolled: 1-line block ×4, first 2 shown]
	v_fma_f64 v[4:5], v[110:111], s[14:15], -v[175:176]
	v_fma_f64 v[6:7], v[88:89], s[14:15], v[187:188]
	v_add_f64 v[0:1], v[8:9], v[0:1]
	v_fma_f64 v[8:9], v[104:105], s[14:15], -v[203:204]
	v_add_f64 v[2:3], v[4:5], v[2:3]
	v_mul_f64 v[4:5], v[112:113], s[24:25]
	buffer_store_dword v4, off, s[56:59], 0 ; 4-byte Folded Spill
	buffer_store_dword v5, off, s[56:59], 0 offset:4 ; 4-byte Folded Spill
	v_fma_f64 v[4:5], v[98:99], s[16:17], v[4:5]
	v_add_f64 v[0:1], v[4:5], v[0:1]
	v_mul_f64 v[4:5], v[100:101], s[24:25]
	buffer_store_dword v4, off, s[56:59], 0 offset:8 ; 4-byte Folded Spill
	buffer_store_dword v5, off, s[56:59], 0 offset:12 ; 4-byte Folded Spill
	v_fma_f64 v[4:5], v[114:115], s[16:17], -v[4:5]
	v_add_f64 v[2:3], v[4:5], v[2:3]
	v_mul_f64 v[4:5], v[116:117], s[22:23]
	buffer_store_dword v4, off, s[56:59], 0 offset:24 ; 4-byte Folded Spill
	buffer_store_dword v5, off, s[56:59], 0 offset:28 ; 4-byte Folded Spill
	v_fma_f64 v[4:5], v[106:107], s[20:21], v[4:5]
	v_add_f64 v[0:1], v[4:5], v[0:1]
	v_mul_f64 v[4:5], v[108:109], s[22:23]
	buffer_store_dword v4, off, s[56:59], 0 offset:32 ; 4-byte Folded Spill
	buffer_store_dword v5, off, s[56:59], 0 offset:36 ; 4-byte Folded Spill
	ds_read_b128 v[40:43], v174 offset:9856
	ds_read_b128 v[68:71], v174 offset:5376
	;; [unrolled: 1-line block ×4, first 2 shown]
	s_waitcnt lgkmcnt(2)
	v_add_f64 v[132:133], v[70:71], -v[42:43]
	v_add_f64 v[118:119], v[68:69], v[40:41]
	v_add_f64 v[120:121], v[68:69], -v[40:41]
	v_add_f64 v[136:137], v[70:71], v[42:43]
	s_waitcnt lgkmcnt(0)
	v_add_f64 v[134:135], v[78:79], -v[62:63]
	v_add_f64 v[122:123], v[76:77], v[60:61]
	v_add_f64 v[124:125], v[76:77], -v[60:61]
	v_add_f64 v[142:143], v[78:79], v[62:63]
	v_mul_f64 v[221:222], v[132:133], s[50:51]
	v_mul_f64 v[229:230], v[132:133], s[54:55]
	;; [unrolled: 1-line block ×10, first 2 shown]
	v_fma_f64 v[4:5], v[126:127], s[20:21], -v[4:5]
	v_add_f64 v[2:3], v[4:5], v[2:3]
	v_mul_f64 v[4:5], v[132:133], s[28:29]
	buffer_store_dword v4, off, s[56:59], 0 offset:48 ; 4-byte Folded Spill
	buffer_store_dword v5, off, s[56:59], 0 offset:52 ; 4-byte Folded Spill
	v_fma_f64 v[4:5], v[118:119], s[26:27], v[4:5]
	v_add_f64 v[0:1], v[4:5], v[0:1]
	v_mul_f64 v[4:5], v[120:121], s[28:29]
	buffer_store_dword v4, off, s[56:59], 0 offset:64 ; 4-byte Folded Spill
	buffer_store_dword v5, off, s[56:59], 0 offset:68 ; 4-byte Folded Spill
	v_fma_f64 v[4:5], v[136:137], s[26:27], -v[4:5]
	v_add_f64 v[2:3], v[4:5], v[2:3]
	v_mul_f64 v[4:5], v[134:135], s[36:37]
	buffer_store_dword v4, off, s[56:59], 0 offset:56 ; 4-byte Folded Spill
	buffer_store_dword v5, off, s[56:59], 0 offset:60 ; 4-byte Folded Spill
	ds_read_b128 v[80:83], v174 offset:7168
	ds_read_b128 v[72:75], v174 offset:8064
	s_waitcnt lgkmcnt(0)
	v_add_f64 v[146:147], v[82:83], -v[74:75]
	v_add_f64 v[128:129], v[80:81], v[72:73]
	v_add_f64 v[130:131], v[80:81], -v[72:73]
	v_add_f64 v[150:151], v[82:83], v[74:75]
	v_mul_f64 v[193:194], v[146:147], s[42:43]
	v_mul_f64 v[213:214], v[146:147], s[54:55]
	;; [unrolled: 1-line block ×5, first 2 shown]
	v_fma_f64 v[4:5], v[122:123], s[34:35], v[4:5]
	v_add_f64 v[0:1], v[4:5], v[0:1]
	v_fma_f64 v[4:5], v[142:143], s[34:35], -v[189:190]
	v_add_f64 v[2:3], v[4:5], v[2:3]
	v_fma_f64 v[4:5], v[128:129], s[40:41], v[193:194]
	v_add_f64 v[0:1], v[4:5], v[0:1]
	v_fma_f64 v[4:5], v[150:151], s[40:41], -v[197:198]
	v_add_f64 v[2:3], v[4:5], v[2:3]
	v_fma_f64 v[4:5], v[158:159], s[34:35], v[156:157]
	v_add_f64 v[4:5], v[20:21], v[4:5]
	v_add_f64 v[4:5], v[6:7], v[4:5]
	v_fma_f64 v[6:7], v[162:163], s[34:35], -v[164:165]
	v_add_f64 v[6:7], v[22:23], v[6:7]
	v_add_f64 v[6:7], v[8:9], v[6:7]
	v_fma_f64 v[8:9], v[92:93], s[16:17], v[195:196]
	v_add_f64 v[4:5], v[8:9], v[4:5]
	v_fma_f64 v[8:9], v[110:111], s[16:17], -v[215:216]
	v_add_f64 v[6:7], v[8:9], v[6:7]
	v_fma_f64 v[8:9], v[98:99], s[26:27], v[201:202]
	v_add_f64 v[4:5], v[8:9], v[4:5]
	v_fma_f64 v[8:9], v[114:115], s[26:27], -v[225:226]
	v_add_f64 v[6:7], v[8:9], v[6:7]
	v_fma_f64 v[8:9], v[106:107], s[4:5], v[209:210]
	v_add_f64 v[4:5], v[8:9], v[4:5]
	v_fma_f64 v[8:9], v[126:127], s[4:5], -v[235:236]
	v_add_f64 v[6:7], v[8:9], v[6:7]
	v_fma_f64 v[8:9], v[118:119], s[40:41], v[221:222]
	v_add_f64 v[4:5], v[8:9], v[4:5]
	v_fma_f64 v[8:9], v[136:137], s[40:41], -v[239:240]
	v_add_f64 v[6:7], v[8:9], v[6:7]
	v_fma_f64 v[8:9], v[122:123], s[12:13], v[211:212]
	v_add_f64 v[4:5], v[8:9], v[4:5]
	v_fma_f64 v[8:9], v[142:143], s[12:13], -v[231:232]
	v_add_f64 v[6:7], v[8:9], v[6:7]
	v_fma_f64 v[8:9], v[128:129], s[20:21], v[213:214]
	v_add_f64 v[4:5], v[8:9], v[4:5]
	v_fma_f64 v[8:9], v[150:151], s[20:21], -v[233:234]
	v_add_f64 v[6:7], v[8:9], v[6:7]
	v_fma_f64 v[8:9], v[158:159], s[12:13], v[166:167]
	v_add_f64 v[8:9], v[20:21], v[8:9]
	v_add_f64 v[8:9], v[10:11], v[8:9]
	v_fma_f64 v[10:11], v[162:163], s[12:13], -v[168:169]
	v_add_f64 v[10:11], v[22:23], v[10:11]
	v_add_f64 v[10:11], v[12:13], v[10:11]
	v_fma_f64 v[12:13], v[92:93], s[26:27], v[217:218]
	v_add_f64 v[8:9], v[12:13], v[8:9]
	v_fma_f64 v[12:13], v[110:111], s[26:27], -v[249:250]
	v_add_f64 v[10:11], v[12:13], v[10:11]
	v_fma_f64 v[12:13], v[98:99], s[40:41], v[207:208]
	v_add_f64 v[8:9], v[12:13], v[8:9]
	v_fma_f64 v[12:13], v[114:115], s[40:41], -v[140:141]
	v_add_f64 v[10:11], v[12:13], v[10:11]
	v_fma_f64 v[12:13], v[106:107], s[34:35], v[237:238]
	v_add_f64 v[8:9], v[12:13], v[8:9]
	v_mul_f64 v[12:13], v[108:109], s[38:39]
	buffer_store_dword v12, off, s[56:59], 0 offset:88 ; 4-byte Folded Spill
	buffer_store_dword v13, off, s[56:59], 0 offset:92 ; 4-byte Folded Spill
	v_fma_f64 v[12:13], v[126:127], s[34:35], -v[12:13]
	v_add_f64 v[10:11], v[12:13], v[10:11]
	v_fma_f64 v[12:13], v[118:119], s[20:21], v[229:230]
	v_add_f64 v[8:9], v[12:13], v[8:9]
	v_mul_f64 v[12:13], v[120:121], s[54:55]
	buffer_store_dword v12, off, s[56:59], 0 offset:104 ; 4-byte Folded Spill
	buffer_store_dword v13, off, s[56:59], 0 offset:108 ; 4-byte Folded Spill
	v_fma_f64 v[12:13], v[136:137], s[20:21], -v[12:13]
	v_add_f64 v[10:11], v[12:13], v[10:11]
	v_fma_f64 v[12:13], v[122:123], s[14:15], v[245:246]
	v_add_f64 v[8:9], v[12:13], v[8:9]
	v_fma_f64 v[12:13], v[142:143], s[14:15], -v[85:86]
	v_add_f64 v[10:11], v[12:13], v[10:11]
	v_fma_f64 v[12:13], v[128:129], s[4:5], v[241:242]
	v_add_f64 v[8:9], v[12:13], v[8:9]
	v_mul_f64 v[12:13], v[130:131], s[46:47]
	buffer_store_dword v12, off, s[56:59], 0 offset:72 ; 4-byte Folded Spill
	buffer_store_dword v13, off, s[56:59], 0 offset:76 ; 4-byte Folded Spill
	v_fma_f64 v[12:13], v[150:151], s[4:5], -v[12:13]
	v_add_f64 v[10:11], v[12:13], v[10:11]
	v_fma_f64 v[12:13], v[158:159], s[26:27], v[170:171]
	v_add_f64 v[12:13], v[20:21], v[12:13]
	v_add_f64 v[12:13], v[14:15], v[12:13]
	v_fma_f64 v[14:15], v[162:163], s[26:27], -v[172:173]
	v_add_f64 v[14:15], v[22:23], v[14:15]
	v_add_f64 v[14:15], v[138:139], v[14:15]
	v_fma_f64 v[138:139], v[92:93], s[4:5], v[219:220]
	v_add_f64 v[12:13], v[138:139], v[12:13]
	v_mul_f64 v[138:139], v[94:95], s[46:47]
	buffer_store_dword v138, off, s[56:59], 0 offset:80 ; 4-byte Folded Spill
	buffer_store_dword v139, off, s[56:59], 0 offset:84 ; 4-byte Folded Spill
	v_fma_f64 v[138:139], v[110:111], s[4:5], -v[138:139]
	v_add_f64 v[14:15], v[138:139], v[14:15]
	v_fma_f64 v[138:139], v[98:99], s[34:35], v[223:224]
	v_add_f64 v[12:13], v[138:139], v[12:13]
	v_mul_f64 v[138:139], v[100:101], s[38:39]
	buffer_store_dword v138, off, s[56:59], 0 offset:96 ; 4-byte Folded Spill
	buffer_store_dword v139, off, s[56:59], 0 offset:100 ; 4-byte Folded Spill
	v_fma_f64 v[138:139], v[114:115], s[34:35], -v[138:139]
	v_add_f64 v[14:15], v[138:139], v[14:15]
	v_fma_f64 v[138:139], v[106:107], s[16:17], v[227:228]
	v_add_f64 v[12:13], v[138:139], v[12:13]
	v_mul_f64 v[138:139], v[108:109], s[24:25]
	buffer_store_dword v138, off, s[56:59], 0 offset:112 ; 4-byte Folded Spill
	buffer_store_dword v139, off, s[56:59], 0 offset:116 ; 4-byte Folded Spill
	s_waitcnt_vscnt null, 0x0
	s_barrier
	buffer_gl0_inv
	v_fma_f64 v[144:145], v[126:127], s[16:17], -v[138:139]
	v_mul_f64 v[138:139], v[146:147], s[18:19]
	v_add_f64 v[14:15], v[144:145], v[14:15]
	v_fma_f64 v[144:145], v[118:119], s[12:13], v[247:248]
	v_add_f64 v[12:13], v[144:145], v[12:13]
	v_mul_f64 v[144:145], v[120:121], s[52:53]
	v_fma_f64 v[148:149], v[136:137], s[12:13], -v[144:145]
	v_add_f64 v[14:15], v[148:149], v[14:15]
	v_fma_f64 v[148:149], v[122:123], s[40:41], v[251:252]
	v_add_f64 v[12:13], v[148:149], v[12:13]
	v_mul_f64 v[148:149], v[124:125], s[50:51]
	v_fma_f64 v[154:155], v[142:143], s[40:41], -v[148:149]
	;; [unrolled: 5-line block ×3, first 2 shown]
	v_add_f64 v[14:15], v[177:178], v[14:15]
	v_cmpx_gt_u32_e32 56, v84
	s_cbranch_execz .LBB0_12
; %bb.11:
	v_add_f64 v[46:47], v[22:23], v[46:47]
	v_add_f64 v[44:45], v[20:21], v[44:45]
	v_mul_f64 v[177:178], v[142:143], s[20:21]
	v_add_f64 v[46:47], v[46:47], v[50:51]
	v_add_f64 v[44:45], v[44:45], v[48:49]
	;; [unrolled: 1-line block ×6, first 2 shown]
	v_mul_f64 v[56:57], v[152:153], s[24:25]
	v_mul_f64 v[58:59], v[152:153], s[54:55]
	v_add_f64 v[46:47], v[46:47], v[66:67]
	v_add_f64 v[44:45], v[44:45], v[64:65]
	v_fma_f64 v[64:65], v[158:159], s[16:17], v[56:57]
	v_fma_f64 v[56:57], v[158:159], s[16:17], -v[56:57]
	v_fma_f64 v[66:67], v[158:159], s[20:21], v[58:59]
	v_fma_f64 v[58:59], v[158:159], s[20:21], -v[58:59]
	v_add_f64 v[46:47], v[46:47], v[70:71]
	v_add_f64 v[44:45], v[44:45], v[68:69]
	;; [unrolled: 1-line block ×8, first 2 shown]
	v_mov_b32_e32 v76, v179
	v_mov_b32_e32 v77, v180
	v_mul_f64 v[179:180], v[134:135], s[54:55]
	v_add_f64 v[46:47], v[46:47], v[82:83]
	v_add_f64 v[44:45], v[44:45], v[80:81]
	;; [unrolled: 1-line block ×6, first 2 shown]
	v_mul_f64 v[60:61], v[152:153], s[18:19]
	v_mul_f64 v[62:63], v[152:153], s[50:51]
	v_add_f64 v[42:43], v[46:47], v[42:43]
	v_add_f64 v[40:41], v[44:45], v[40:41]
	v_mul_f64 v[44:45], v[162:163], s[14:15]
	v_mul_f64 v[46:47], v[162:163], s[40:41]
	v_fma_f64 v[68:69], v[158:159], s[14:15], v[60:61]
	v_fma_f64 v[60:61], v[158:159], s[14:15], -v[60:61]
	v_fma_f64 v[70:71], v[158:159], s[40:41], v[62:63]
	v_fma_f64 v[62:63], v[158:159], s[40:41], -v[62:63]
	v_add_f64 v[38:39], v[42:43], v[38:39]
	v_add_f64 v[36:37], v[40:41], v[36:37]
	v_mul_f64 v[42:43], v[162:163], s[20:21]
	v_fma_f64 v[52:53], v[160:161], s[48:49], v[44:45]
	v_fma_f64 v[44:45], v[160:161], s[18:19], v[44:45]
	;; [unrolled: 1-line block ×3, first 2 shown]
	v_add_f64 v[68:69], v[20:21], v[68:69]
	v_add_f64 v[70:71], v[20:21], v[70:71]
	v_fma_f64 v[46:47], v[160:161], s[50:51], v[46:47]
	v_add_f64 v[34:35], v[38:39], v[34:35]
	s_clause 0x3
	buffer_load_dword v38, off, s[56:59], 0 offset:40
	buffer_load_dword v39, off, s[56:59], 0 offset:44
	;; [unrolled: 1-line block ×4, first 2 shown]
	v_add_f64 v[32:33], v[36:37], v[32:33]
	v_mul_f64 v[36:37], v[162:163], s[4:5]
	v_fma_f64 v[50:51], v[160:161], s[22:23], v[42:43]
	v_add_f64 v[152:153], v[22:23], v[52:53]
	v_add_f64 v[52:53], v[20:21], v[60:61]
	v_fma_f64 v[42:43], v[160:161], s[54:55], v[42:43]
	v_add_f64 v[30:31], v[34:35], v[30:31]
	v_mul_f64 v[34:35], v[158:159], s[34:35]
	v_add_f64 v[28:29], v[32:33], v[28:29]
	v_mul_f64 v[32:33], v[162:163], s[34:35]
	v_add_f64 v[72:73], v[22:23], v[50:51]
	v_add_f64 v[50:51], v[22:23], v[44:45]
	;; [unrolled: 1-line block ×4, first 2 shown]
	v_mul_f64 v[30:31], v[158:159], s[12:13]
	v_add_f64 v[34:35], v[34:35], -v[156:157]
	v_add_f64 v[24:25], v[28:29], v[24:25]
	v_add_f64 v[32:33], v[164:165], v[32:33]
	v_mul_f64 v[28:29], v[162:163], s[12:13]
	v_mul_f64 v[164:165], v[150:151], s[12:13]
	v_add_f64 v[18:19], v[26:27], v[18:19]
	v_mul_f64 v[26:27], v[158:159], s[26:27]
	v_add_f64 v[30:31], v[30:31], -v[166:167]
	v_add_f64 v[16:17], v[24:25], v[16:17]
	v_mul_f64 v[24:25], v[162:163], s[26:27]
	v_add_f64 v[80:81], v[22:23], v[32:33]
	v_add_f64 v[82:83], v[20:21], v[34:35]
	;; [unrolled: 1-line block ×3, first 2 shown]
	v_mul_f64 v[166:167], v[146:147], s[52:53]
	v_mul_f64 v[168:169], v[116:117], s[30:31]
	v_add_f64 v[26:27], v[26:27], -v[170:171]
	v_add_f64 v[78:79], v[20:21], v[30:31]
	v_add_f64 v[30:31], v[20:21], v[62:63]
	;; [unrolled: 1-line block ×3, first 2 shown]
	v_mul_f64 v[170:171], v[136:137], s[14:15]
	v_mul_f64 v[172:173], v[132:133], s[18:19]
	v_add_f64 v[42:43], v[22:23], v[28:29]
	v_add_f64 v[28:29], v[22:23], v[46:47]
	;; [unrolled: 1-line block ×3, first 2 shown]
	v_mul_f64 v[26:27], v[96:97], s[42:43]
	v_add_f64 v[44:45], v[22:23], v[24:25]
	v_add_f64 v[24:25], v[22:23], v[54:55]
	buffer_store_dword v24, off, s[56:59], 0 offset:16 ; 4-byte Folded Spill
	buffer_store_dword v25, off, s[56:59], 0 offset:20 ; 4-byte Folded Spill
	v_mul_f64 v[24:25], v[104:105], s[40:41]
	s_waitcnt vmcnt(2)
	v_add_f64 v[36:37], v[38:39], v[36:37]
	v_mul_f64 v[38:39], v[158:159], s[4:5]
	v_add_f64 v[32:33], v[22:23], v[36:37]
	s_waitcnt vmcnt(0)
	v_add_f64 v[38:39], v[38:39], -v[40:41]
	v_mul_f64 v[40:41], v[162:163], s[16:17]
	v_mul_f64 v[36:37], v[110:111], s[20:21]
	v_add_f64 v[34:35], v[20:21], v[38:39]
	v_fma_f64 v[48:49], v[160:161], s[44:45], v[40:41]
	v_fma_f64 v[20:21], v[90:91], s[50:51], v[24:25]
	;; [unrolled: 1-line block ×6, first 2 shown]
	v_add_f64 v[48:49], v[22:23], v[48:49]
	v_add_f64 v[40:41], v[22:23], v[40:41]
	v_fma_f64 v[22:23], v[88:89], s[40:41], v[26:27]
	v_fma_f64 v[26:27], v[88:89], s[40:41], -v[26:27]
	v_add_f64 v[20:21], v[20:21], v[48:49]
	v_add_f64 v[24:25], v[24:25], v[40:41]
	;; [unrolled: 1-line block ×4, first 2 shown]
	v_mul_f64 v[40:41], v[110:111], s[14:15]
	v_add_f64 v[20:21], v[38:39], v[20:21]
	v_mul_f64 v[38:39], v[102:103], s[54:55]
	v_add_f64 v[24:25], v[36:37], v[24:25]
	v_fma_f64 v[46:47], v[92:93], s[20:21], v[38:39]
	v_fma_f64 v[36:37], v[92:93], s[20:21], -v[38:39]
	v_fma_f64 v[38:39], v[128:129], s[12:13], -v[166:167]
	v_add_f64 v[22:23], v[46:47], v[22:23]
	v_mul_f64 v[46:47], v[114:115], s[4:5]
	v_add_f64 v[26:27], v[36:37], v[26:27]
	v_fma_f64 v[48:49], v[100:101], s[6:7], v[46:47]
	v_fma_f64 v[36:37], v[100:101], s[46:47], v[46:47]
	v_mov_b32_e32 v46, v175
	v_mov_b32_e32 v47, v176
	;; [unrolled: 1-line block ×6, first 2 shown]
	v_add_f64 v[40:41], v[46:47], v[40:41]
	v_mul_f64 v[46:47], v[92:93], s[14:15]
	v_mov_b32_e32 v252, v228
	v_mov_b32_e32 v251, v227
	;; [unrolled: 1-line block ×12, first 2 shown]
	v_add_f64 v[20:21], v[48:49], v[20:21]
	v_mul_f64 v[48:49], v[112:113], s[46:47]
	v_add_f64 v[24:25], v[36:37], v[24:25]
	v_fma_f64 v[54:55], v[98:99], s[4:5], v[48:49]
	v_fma_f64 v[36:37], v[98:99], s[4:5], -v[48:49]
	v_mov_b32_e32 v48, v181
	v_mov_b32_e32 v49, v182
	v_mul_f64 v[181:182], v[150:151], s[16:17]
	v_add_f64 v[46:47], v[46:47], -v[48:49]
	v_mul_f64 v[48:49], v[114:115], s[16:17]
	v_add_f64 v[22:23], v[54:55], v[22:23]
	v_mul_f64 v[54:55], v[126:127], s[14:15]
	v_add_f64 v[26:27], v[36:37], v[26:27]
	v_fma_f64 v[62:63], v[108:109], s[48:49], v[54:55]
	v_fma_f64 v[36:37], v[108:109], s[18:19], v[54:55]
	s_clause 0x3
	buffer_load_dword v54, off, s[56:59], 0 offset:8
	buffer_load_dword v55, off, s[56:59], 0 offset:12
	buffer_load_dword v56, off, s[56:59], 0
	buffer_load_dword v57, off, s[56:59], 0 offset:4
	v_add_f64 v[20:21], v[62:63], v[20:21]
	v_mul_f64 v[62:63], v[116:117], s[18:19]
	v_add_f64 v[24:25], v[36:37], v[24:25]
	v_fma_f64 v[64:65], v[106:107], s[14:15], v[62:63]
	v_fma_f64 v[36:37], v[106:107], s[14:15], -v[62:63]
	s_clause 0x1
	buffer_load_dword v62, off, s[56:59], 0 offset:32
	buffer_load_dword v63, off, s[56:59], 0 offset:36
	v_add_f64 v[22:23], v[64:65], v[22:23]
	v_mul_f64 v[64:65], v[136:137], s[34:35]
	v_add_f64 v[26:27], v[36:37], v[26:27]
	v_fma_f64 v[156:157], v[120:121], s[38:39], v[64:65]
	v_fma_f64 v[36:37], v[120:121], s[36:37], v[64:65]
	v_mul_f64 v[64:65], v[104:105], s[4:5]
	v_add_f64 v[20:21], v[156:157], v[20:21]
	v_mul_f64 v[156:157], v[132:133], s[36:37]
	v_add_f64 v[24:25], v[36:37], v[24:25]
	v_fma_f64 v[158:159], v[118:119], s[34:35], v[156:157]
	v_fma_f64 v[36:37], v[118:119], s[34:35], -v[156:157]
	v_mul_f64 v[156:157], v[96:97], s[6:7]
	v_add_f64 v[22:23], v[158:159], v[22:23]
	v_mul_f64 v[158:159], v[142:143], s[26:27]
	v_add_f64 v[26:27], v[36:37], v[26:27]
	v_fma_f64 v[160:161], v[124:125], s[28:29], v[158:159]
	v_fma_f64 v[36:37], v[124:125], s[30:31], v[158:159]
	v_mul_f64 v[158:159], v[110:111], s[34:35]
	v_add_f64 v[20:21], v[160:161], v[20:21]
	v_mul_f64 v[160:161], v[134:135], s[30:31]
	v_add_f64 v[24:25], v[36:37], v[24:25]
	v_fma_f64 v[36:37], v[122:123], s[26:27], -v[160:161]
	v_fma_f64 v[162:163], v[122:123], s[26:27], v[160:161]
	v_mul_f64 v[160:161], v[102:103], s[38:39]
	v_add_f64 v[36:37], v[36:37], v[26:27]
	v_fma_f64 v[26:27], v[130:131], s[52:53], v[164:165]
	v_add_f64 v[162:163], v[162:163], v[22:23]
	v_fma_f64 v[22:23], v[130:131], s[10:11], v[164:165]
	v_mul_f64 v[164:165], v[112:113], s[10:11]
	v_add_f64 v[26:27], v[26:27], v[24:25]
	v_add_f64 v[24:25], v[38:39], v[36:37]
	v_fma_f64 v[36:37], v[90:91], s[6:7], v[64:65]
	v_add_f64 v[22:23], v[22:23], v[20:21]
	v_fma_f64 v[20:21], v[128:129], s[12:13], v[166:167]
	v_mul_f64 v[166:167], v[126:127], s[26:27]
	v_mov_b32_e32 v38, v183
	v_mov_b32_e32 v39, v184
	v_mul_f64 v[183:184], v[146:147], s[24:25]
	v_fma_f64 v[64:65], v[90:91], s[46:47], v[64:65]
	v_add_f64 v[28:29], v[36:37], v[28:29]
	v_fma_f64 v[36:37], v[88:89], s[4:5], -v[156:157]
	v_add_f64 v[20:21], v[20:21], v[162:163]
	v_mul_f64 v[162:163], v[114:115], s[12:13]
	v_add_f64 v[30:31], v[36:37], v[30:31]
	v_fma_f64 v[36:37], v[94:95], s[38:39], v[158:159]
	s_waitcnt vmcnt(4)
	v_add_f64 v[48:49], v[54:55], v[48:49]
	v_mul_f64 v[54:55], v[98:99], s[16:17]
	v_add_f64 v[28:29], v[36:37], v[28:29]
	v_fma_f64 v[36:37], v[92:93], s[34:35], -v[160:161]
	s_waitcnt vmcnt(2)
	v_add_f64 v[54:55], v[54:55], -v[56:57]
	v_mul_f64 v[56:57], v[126:127], s[20:21]
	v_add_f64 v[30:31], v[36:37], v[30:31]
	v_fma_f64 v[36:37], v[100:101], s[10:11], v[162:163]
	s_waitcnt vmcnt(0)
	v_add_f64 v[56:57], v[62:63], v[56:57]
	v_mul_f64 v[62:63], v[106:107], s[20:21]
	v_add_f64 v[28:29], v[36:37], v[28:29]
	v_fma_f64 v[36:37], v[98:99], s[12:13], -v[164:165]
	v_add_f64 v[30:31], v[36:37], v[30:31]
	v_fma_f64 v[36:37], v[108:109], s[30:31], v[166:167]
	v_add_f64 v[28:29], v[36:37], v[28:29]
	v_fma_f64 v[36:37], v[106:107], s[26:27], -v[168:169]
	v_add_f64 v[30:31], v[36:37], v[30:31]
	v_fma_f64 v[36:37], v[120:121], s[18:19], v[170:171]
	;; [unrolled: 4-line block ×4, first 2 shown]
	v_add_f64 v[30:31], v[30:31], v[28:29]
	v_fma_f64 v[28:29], v[128:129], s[16:17], -v[183:184]
	v_add_f64 v[28:29], v[28:29], v[36:37]
	v_mul_f64 v[36:37], v[104:105], s[12:13]
	v_add_f64 v[36:37], v[38:39], v[36:37]
	v_mul_f64 v[38:39], v[88:89], s[12:13]
	v_add_f64 v[32:33], v[36:37], v[32:33]
	v_add_f64 v[38:39], v[38:39], -v[185:186]
	s_clause 0x3
	buffer_load_dword v185, off, s[56:59], 0 offset:24
	buffer_load_dword v186, off, s[56:59], 0 offset:28
	;; [unrolled: 1-line block ×4, first 2 shown]
	v_mul_f64 v[36:37], v[118:119], s[26:27]
	v_add_f64 v[32:33], v[40:41], v[32:33]
	v_add_f64 v[34:35], v[38:39], v[34:35]
	s_clause 0x1
	buffer_load_dword v38, off, s[56:59], 0 offset:48
	buffer_load_dword v39, off, s[56:59], 0 offset:52
	v_mul_f64 v[40:41], v[122:123], s[34:35]
	v_add_f64 v[32:33], v[48:49], v[32:33]
	v_add_f64 v[34:35], v[46:47], v[34:35]
	s_clause 0x1
	buffer_load_dword v46, off, s[56:59], 0 offset:56
	buffer_load_dword v47, off, s[56:59], 0 offset:60
	v_mul_f64 v[48:49], v[126:127], s[4:5]
	v_add_f64 v[32:33], v[56:57], v[32:33]
	v_add_f64 v[34:35], v[54:55], v[34:35]
	v_mul_f64 v[54:55], v[92:93], s[16:17]
	v_mul_f64 v[56:57], v[98:99], s[26:27]
	v_add_f64 v[48:49], v[235:236], v[48:49]
	v_add_f64 v[54:55], v[54:55], -v[199:200]
	v_add_f64 v[56:57], v[56:57], -v[201:202]
	s_waitcnt vmcnt(6)
	v_add_f64 v[62:63], v[62:63], -v[185:186]
	v_mul_f64 v[185:186], v[136:137], s[26:27]
	s_waitcnt vmcnt(2)
	v_add_f64 v[36:37], v[36:37], -v[38:39]
	v_add_f64 v[185:186], v[189:190], v[185:186]
	v_mul_f64 v[38:39], v[142:143], s[34:35]
	v_add_f64 v[34:35], v[62:63], v[34:35]
	v_mul_f64 v[62:63], v[106:107], s[4:5]
	v_mul_f64 v[189:190], v[146:147], s[36:37]
	s_waitcnt vmcnt(0)
	v_add_f64 v[40:41], v[40:41], -v[46:47]
	v_mul_f64 v[46:47], v[150:151], s[40:41]
	v_add_f64 v[38:39], v[187:188], v[38:39]
	v_add_f64 v[32:33], v[185:186], v[32:33]
	v_add_f64 v[34:35], v[36:37], v[34:35]
	v_mul_f64 v[36:37], v[128:129], s[40:41]
	v_add_f64 v[62:63], v[62:63], -v[209:210]
	v_mul_f64 v[185:186], v[136:137], s[40:41]
	v_mul_f64 v[187:188], v[150:151], s[34:35]
	v_add_f64 v[46:47], v[197:198], v[46:47]
	v_add_f64 v[32:33], v[38:39], v[32:33]
	;; [unrolled: 1-line block ×3, first 2 shown]
	v_add_f64 v[36:37], v[36:37], -v[193:194]
	v_mul_f64 v[40:41], v[114:115], s[26:27]
	v_add_f64 v[185:186], v[239:240], v[185:186]
	v_add_f64 v[34:35], v[46:47], v[32:33]
	v_mul_f64 v[46:47], v[88:89], s[14:15]
	v_add_f64 v[32:33], v[36:37], v[38:39]
	v_mul_f64 v[36:37], v[104:105], s[14:15]
	v_mul_f64 v[38:39], v[110:111], s[16:17]
	v_add_f64 v[40:41], v[225:226], v[40:41]
	v_add_f64 v[46:47], v[46:47], -v[195:196]
	v_add_f64 v[36:37], v[203:204], v[36:37]
	v_add_f64 v[38:39], v[215:216], v[38:39]
	;; [unrolled: 1-line block ×3, first 2 shown]
	v_mul_f64 v[82:83], v[142:143], s[14:15]
	v_add_f64 v[36:37], v[36:37], v[80:81]
	v_mul_f64 v[80:81], v[118:119], s[40:41]
	v_add_f64 v[82:83], v[85:86], v[82:83]
	v_add_f64 v[36:37], v[38:39], v[36:37]
	;; [unrolled: 1-line block ×3, first 2 shown]
	v_add_f64 v[80:81], v[80:81], -v[221:222]
	v_mul_f64 v[46:47], v[142:143], s[12:13]
	v_mul_f64 v[54:55], v[128:129], s[20:21]
	;; [unrolled: 1-line block ×3, first 2 shown]
	v_add_f64 v[36:37], v[40:41], v[36:37]
	v_add_f64 v[38:39], v[56:57], v[38:39]
	s_clause 0x1
	buffer_load_dword v56, off, s[56:59], 0 offset:88
	buffer_load_dword v57, off, s[56:59], 0 offset:92
	v_mul_f64 v[40:41], v[122:123], s[12:13]
	v_add_f64 v[46:47], v[231:232], v[46:47]
	v_add_f64 v[54:55], v[54:55], -v[213:214]
	v_add_f64 v[85:86], v[85:86], -v[237:238]
	v_add_f64 v[36:37], v[48:49], v[36:37]
	v_add_f64 v[38:39], v[62:63], v[38:39]
	v_mul_f64 v[48:49], v[150:151], s[20:21]
	v_add_f64 v[40:41], v[40:41], -v[211:212]
	v_mul_f64 v[62:63], v[136:137], s[20:21]
	v_add_f64 v[36:37], v[185:186], v[36:37]
	v_add_f64 v[38:39], v[80:81], v[38:39]
	s_clause 0x1
	buffer_load_dword v80, off, s[56:59], 0 offset:104
	buffer_load_dword v81, off, s[56:59], 0 offset:108
	v_add_f64 v[48:49], v[233:234], v[48:49]
	v_mul_f64 v[185:186], v[134:135], s[24:25]
	v_add_f64 v[36:37], v[46:47], v[36:37]
	v_add_f64 v[40:41], v[40:41], v[38:39]
	v_mul_f64 v[46:47], v[110:111], s[26:27]
	v_add_f64 v[38:39], v[48:49], v[36:37]
	v_add_f64 v[36:37], v[54:55], v[40:41]
	v_mul_f64 v[54:55], v[126:127], s[34:35]
	v_mul_f64 v[40:41], v[104:105], s[16:17]
	v_add_f64 v[46:47], v[249:250], v[46:47]
	v_mul_f64 v[48:49], v[114:115], s[40:41]
	v_add_f64 v[40:41], v[243:244], v[40:41]
	v_add_f64 v[48:49], v[140:141], v[48:49]
	v_mul_f64 v[140:141], v[102:103], s[50:51]
	v_add_f64 v[40:41], v[40:41], v[42:43]
	;; [unrolled: 3-line block ×3, first 2 shown]
	v_add_f64 v[46:47], v[46:47], -v[229:230]
	v_mul_f64 v[48:49], v[122:123], s[14:15]
	v_add_f64 v[48:49], v[48:49], -v[245:246]
	s_waitcnt vmcnt(2)
	v_add_f64 v[54:55], v[56:57], v[54:55]
	v_mul_f64 v[56:57], v[88:89], s[16:17]
	v_add_f64 v[40:41], v[54:55], v[40:41]
	v_add_f64 v[56:57], v[56:57], -v[205:206]
	v_mul_f64 v[54:55], v[150:151], s[4:5]
	s_waitcnt vmcnt(0)
	v_add_f64 v[62:63], v[80:81], v[62:63]
	v_mul_f64 v[80:81], v[92:93], s[26:27]
	v_add_f64 v[42:43], v[56:57], v[78:79]
	v_mul_f64 v[56:57], v[98:99], s[40:41]
	v_mul_f64 v[78:79], v[114:115], s[20:21]
	v_add_f64 v[40:41], v[62:63], v[40:41]
	v_add_f64 v[80:81], v[80:81], -v[217:218]
	v_mul_f64 v[62:63], v[110:111], s[40:41]
	v_add_f64 v[56:57], v[56:57], -v[207:208]
	v_add_f64 v[40:41], v[82:83], v[40:41]
	v_add_f64 v[42:43], v[80:81], v[42:43]
	v_mul_f64 v[80:81], v[126:127], s[12:13]
	v_mul_f64 v[82:83], v[136:137], s[4:5]
	v_add_f64 v[42:43], v[56:57], v[42:43]
	s_clause 0x1
	buffer_load_dword v56, off, s[56:59], 0 offset:72
	buffer_load_dword v57, off, s[56:59], 0 offset:76
	v_add_f64 v[42:43], v[85:86], v[42:43]
	v_mul_f64 v[85:86], v[142:143], s[16:17]
	v_add_f64 v[42:43], v[46:47], v[42:43]
	v_mul_f64 v[46:47], v[128:129], s[4:5]
	v_add_f64 v[48:49], v[48:49], v[42:43]
	v_add_f64 v[46:47], v[46:47], -v[241:242]
	s_waitcnt vmcnt(0)
	v_add_f64 v[54:55], v[56:57], v[54:55]
	s_clause 0x1
	buffer_load_dword v56, off, s[56:59], 0 offset:80
	buffer_load_dword v57, off, s[56:59], 0 offset:84
	v_add_f64 v[42:43], v[54:55], v[40:41]
	v_mul_f64 v[54:55], v[110:111], s[4:5]
	v_add_f64 v[40:41], v[46:47], v[48:49]
	v_mul_f64 v[48:49], v[104:105], s[20:21]
	v_mul_f64 v[46:47], v[150:151], s[14:15]
	v_add_f64 v[48:49], v[253:254], v[48:49]
	v_add_f64 v[46:47], v[154:155], v[46:47]
	v_mul_f64 v[154:155], v[132:133], s[6:7]
	v_add_f64 v[44:45], v[48:49], v[44:45]
	v_mul_f64 v[48:49], v[114:115], s[34:35]
	s_waitcnt vmcnt(0)
	v_add_f64 v[54:55], v[56:57], v[54:55]
	s_clause 0x1
	buffer_load_dword v56, off, s[56:59], 0 offset:96
	buffer_load_dword v57, off, s[56:59], 0 offset:100
	v_add_f64 v[44:45], v[54:55], v[44:45]
	v_mul_f64 v[54:55], v[126:127], s[16:17]
	s_waitcnt vmcnt(0)
	v_add_f64 v[48:49], v[56:57], v[48:49]
	s_clause 0x1
	buffer_load_dword v56, off, s[56:59], 0 offset:112
	buffer_load_dword v57, off, s[56:59], 0 offset:116
	v_add_f64 v[44:45], v[48:49], v[44:45]
	v_mul_f64 v[48:49], v[136:137], s[12:13]
	v_add_f64 v[48:49], v[144:145], v[48:49]
	v_mul_f64 v[144:145], v[112:113], s[54:55]
	s_waitcnt vmcnt(0)
	v_add_f64 v[54:55], v[56:57], v[54:55]
	v_mul_f64 v[56:57], v[92:93], s[4:5]
	v_add_f64 v[44:45], v[54:55], v[44:45]
	v_add_f64 v[56:57], v[56:57], -v[219:220]
	v_mul_f64 v[54:55], v[142:143], s[40:41]
	v_add_f64 v[44:45], v[48:49], v[44:45]
	v_mul_f64 v[48:49], v[88:89], s[20:21]
	v_add_f64 v[54:55], v[148:149], v[54:55]
	v_mul_f64 v[148:149], v[116:117], s[52:53]
	v_add_f64 v[48:49], v[48:49], -v[223:224]
	v_add_f64 v[44:45], v[54:55], v[44:45]
	v_mul_f64 v[54:55], v[122:123], s[40:41]
	v_add_f64 v[48:49], v[48:49], v[60:61]
	v_mul_f64 v[60:61], v[98:99], s[34:35]
	v_add_f64 v[54:55], v[54:55], -v[138:139]
	v_add_f64 v[46:47], v[46:47], v[44:45]
	v_mul_f64 v[138:139], v[96:97], s[28:29]
	v_mul_f64 v[96:97], v[96:97], s[36:37]
	v_add_f64 v[48:49], v[56:57], v[48:49]
	v_add_f64 v[60:61], v[60:61], -v[227:228]
	v_mul_f64 v[56:57], v[106:107], s[16:17]
	v_add_f64 v[48:49], v[60:61], v[48:49]
	v_add_f64 v[56:57], v[56:57], -v[251:252]
	;; [unrolled: 3-line block ×4, first 2 shown]
	v_mul_f64 v[60:61], v[104:105], s[26:27]
	v_add_f64 v[48:49], v[54:55], v[48:49]
	v_add_f64 v[44:45], v[56:57], v[48:49]
	v_fma_f64 v[48:49], v[90:91], s[28:29], v[60:61]
	v_mul_f64 v[56:57], v[104:105], s[34:35]
	v_mul_f64 v[104:105], v[114:115], s[14:15]
	;; [unrolled: 1-line block ×4, first 2 shown]
	v_fma_f64 v[60:61], v[90:91], s[30:31], v[60:61]
	v_add_f64 v[48:49], v[48:49], v[50:51]
	v_fma_f64 v[50:51], v[94:95], s[50:51], v[62:63]
	v_fma_f64 v[62:63], v[94:95], s[42:43], v[62:63]
	v_add_f64 v[60:61], v[60:61], v[152:153]
	v_add_f64 v[48:49], v[50:51], v[48:49]
	v_fma_f64 v[50:51], v[100:101], s[54:55], v[78:79]
	v_add_f64 v[60:61], v[62:63], v[60:61]
	v_fma_f64 v[62:63], v[100:101], s[22:23], v[78:79]
	;; [unrolled: 2-line block ×8, first 2 shown]
	v_add_f64 v[48:49], v[50:51], v[48:49]
	v_fma_f64 v[50:51], v[88:89], s[26:27], -v[138:139]
	v_add_f64 v[62:63], v[62:63], v[68:69]
	v_fma_f64 v[68:69], v[128:129], s[34:35], v[189:190]
	v_add_f64 v[50:51], v[50:51], v[52:53]
	v_fma_f64 v[52:53], v[92:93], s[40:41], -v[140:141]
	v_add_f64 v[50:51], v[52:53], v[50:51]
	v_fma_f64 v[52:53], v[98:99], s[20:21], -v[144:145]
	;; [unrolled: 2-line block ×5, first 2 shown]
	v_add_f64 v[52:53], v[52:53], v[50:51]
	v_fma_f64 v[50:51], v[130:131], s[36:37], v[187:188]
	v_add_f64 v[50:51], v[50:51], v[48:49]
	v_fma_f64 v[48:49], v[128:129], s[34:35], -v[189:190]
	v_add_f64 v[48:49], v[48:49], v[52:53]
	v_fma_f64 v[52:53], v[90:91], s[36:37], v[56:57]
	v_fma_f64 v[56:57], v[90:91], s[38:39], v[56:57]
	v_add_f64 v[52:53], v[52:53], v[74:75]
	v_mul_f64 v[74:75], v[110:111], s[12:13]
	v_mul_f64 v[110:111], v[126:127], s[40:41]
	;; [unrolled: 1-line block ×3, first 2 shown]
	v_add_f64 v[56:57], v[56:57], v[72:73]
	v_fma_f64 v[72:73], v[88:89], s[34:35], v[96:97]
	v_mul_f64 v[142:143], v[146:147], s[30:31]
	v_fma_f64 v[54:55], v[94:95], s[10:11], v[74:75]
	v_add_f64 v[66:67], v[72:73], v[66:67]
	v_fma_f64 v[72:73], v[94:95], s[52:53], v[74:75]
	v_mul_u32_u24_e32 v74, 0x110, v84
	v_add_f64 v[52:53], v[54:55], v[52:53]
	v_fma_f64 v[54:55], v[100:101], s[48:49], v[104:105]
	v_add_f64 v[56:57], v[72:73], v[56:57]
	v_fma_f64 v[72:73], v[128:129], s[26:27], v[142:143]
	;; [unrolled: 2-line block ×5, first 2 shown]
	v_add_f64 v[52:53], v[54:55], v[52:53]
	v_fma_f64 v[54:55], v[88:89], s[34:35], -v[96:97]
	v_add_f64 v[54:55], v[54:55], v[58:59]
	v_mul_f64 v[58:59], v[102:103], s[10:11]
	v_fma_f64 v[102:103], v[92:93], s[12:13], -v[58:59]
	v_fma_f64 v[58:59], v[92:93], s[12:13], v[58:59]
	v_add_f64 v[54:55], v[102:103], v[54:55]
	v_mul_f64 v[102:103], v[112:113], s[48:49]
	v_add_f64 v[58:59], v[58:59], v[66:67]
	v_fma_f64 v[66:67], v[100:101], s[18:19], v[104:105]
	v_fma_f64 v[112:113], v[98:99], s[14:15], -v[102:103]
	v_add_f64 v[56:57], v[66:67], v[56:57]
	v_fma_f64 v[66:67], v[98:99], s[14:15], v[102:103]
	v_add_f64 v[54:55], v[112:113], v[54:55]
	v_mul_f64 v[112:113], v[116:117], s[50:51]
	v_add_f64 v[58:59], v[66:67], v[58:59]
	v_fma_f64 v[66:67], v[108:109], s[42:43], v[110:111]
	v_fma_f64 v[116:117], v[106:107], s[40:41], -v[112:113]
	v_add_f64 v[56:57], v[66:67], v[56:57]
	;; [unrolled: 7-line block ×4, first 2 shown]
	v_fma_f64 v[66:67], v[122:123], s[4:5], v[132:133]
	v_add_f64 v[134:135], v[134:135], v[54:55]
	v_fma_f64 v[54:55], v[130:131], s[30:31], v[136:137]
	v_add_f64 v[66:67], v[66:67], v[58:59]
	;; [unrolled: 2-line block ×3, first 2 shown]
	v_fma_f64 v[52:53], v[128:129], s[26:27], -v[142:143]
	v_add_f64 v[58:59], v[58:59], v[56:57]
	v_add_f64 v[56:57], v[72:73], v[66:67]
	s_clause 0x1
	buffer_load_dword v72, off, s[56:59], 0 offset:16
	buffer_load_dword v73, off, s[56:59], 0 offset:20
	v_fma_f64 v[66:67], v[92:93], s[40:41], v[140:141]
	v_add_f64 v[52:53], v[52:53], v[134:135]
	v_add_f64 v[62:63], v[66:67], v[62:63]
	v_fma_f64 v[66:67], v[98:99], s[20:21], v[144:145]
	v_add_f64 v[62:63], v[66:67], v[62:63]
	v_fma_f64 v[66:67], v[106:107], s[12:13], v[148:149]
	;; [unrolled: 2-line block ×6, first 2 shown]
	v_add_f64 v[62:63], v[62:63], v[60:61]
	v_add_f64 v[60:61], v[68:69], v[66:67]
	v_fma_f64 v[66:67], v[88:89], s[4:5], v[156:157]
	v_fma_f64 v[68:69], v[94:95], s[36:37], v[158:159]
	v_add_f64 v[66:67], v[66:67], v[70:71]
	v_fma_f64 v[70:71], v[100:101], s[52:53], v[162:163]
	s_waitcnt vmcnt(0)
	v_add_f64 v[64:65], v[64:65], v[72:73]
	v_fma_f64 v[72:73], v[92:93], s[34:35], v[160:161]
	v_add_f64 v[64:65], v[68:69], v[64:65]
	v_fma_f64 v[68:69], v[98:99], s[12:13], v[164:165]
	v_add_f64 v[66:67], v[72:73], v[66:67]
	v_fma_f64 v[72:73], v[108:109], s[28:29], v[166:167]
	v_add_f64 v[64:65], v[70:71], v[64:65]
	v_fma_f64 v[70:71], v[106:107], s[26:27], v[168:169]
	v_add_f64 v[66:67], v[68:69], v[66:67]
	v_fma_f64 v[68:69], v[120:121], s[48:49], v[170:171]
	v_add_f64 v[64:65], v[72:73], v[64:65]
	v_fma_f64 v[72:73], v[118:119], s[14:15], v[172:173]
	v_add_f64 v[66:67], v[70:71], v[66:67]
	v_fma_f64 v[70:71], v[124:125], s[22:23], v[177:178]
	v_add_f64 v[64:65], v[68:69], v[64:65]
	v_fma_f64 v[68:69], v[122:123], s[20:21], v[179:180]
	v_add_f64 v[66:67], v[72:73], v[66:67]
	v_fma_f64 v[72:73], v[130:131], s[44:45], v[181:182]
	v_mov_b32_e32 v180, v77
	v_mov_b32_e32 v179, v76
	v_add_f64 v[64:65], v[70:71], v[64:65]
	v_fma_f64 v[70:71], v[128:129], s[16:17], v[183:184]
	v_add_f64 v[68:69], v[68:69], v[66:67]
	v_add_f64 v[66:67], v[72:73], v[64:65]
	;; [unrolled: 1-line block ×3, first 2 shown]
	v_add3_u32 v68, 0, v74, v191
	ds_write_b128 v68, v[16:19]
	ds_write_b128 v68, v[28:31] offset:16
	ds_write_b128 v68, v[32:35] offset:32
	;; [unrolled: 1-line block ×16, first 2 shown]
.LBB0_12:
	s_or_b32 exec_lo, exec_lo, s1
	s_waitcnt lgkmcnt(0)
	s_waitcnt_vscnt null, 0x0
	s_barrier
	buffer_gl0_inv
	ds_read_b128 v[16:19], v87
	ds_read_b128 v[20:23], v174 offset:1088
	ds_read_b128 v[44:47], v174 offset:7616
	;; [unrolled: 1-line block ×11, first 2 shown]
	v_cmp_gt_u32_e64 s0, 34, v84
	s_and_saveexec_b32 s1, s0
	s_cbranch_execz .LBB0_14
; %bb.13:
	ds_read_b128 v[12:15], v174 offset:3264
	ds_read_b128 v[8:11], v174 offset:7072
	;; [unrolled: 1-line block ×4, first 2 shown]
.LBB0_14:
	s_or_b32 exec_lo, exec_lo, s1
	v_and_b32_e32 v64, 0xff, v84
	v_add_nc_u16 v67, v84, 0x44
	v_mul_lo_u16 v65, 0xf1, v64
	v_and_b32_e32 v66, 0xff, v67
	v_add_nc_u16 v64, v84, 0x88
	v_lshrrev_b16 v83, 12, v65
	v_mul_lo_u16 v66, 0xf1, v66
	v_and_b32_e32 v65, 0xff, v64
	v_mul_lo_u16 v68, v83, 17
	v_lshrrev_b16 v124, 12, v66
	v_mul_lo_u16 v69, 0xf1, v65
	v_mov_b32_e32 v66, 3
	v_sub_nc_u16 v125, v84, v68
	v_mul_lo_u16 v68, v124, 17
	v_lshrrev_b16 v126, 12, v69
	v_mul_u32_u24_sdwa v69, v125, v66 dst_sel:DWORD dst_unused:UNUSED_PAD src0_sel:BYTE_0 src1_sel:DWORD
	v_sub_nc_u16 v127, v67, v68
	v_mul_lo_u16 v67, v126, 17
	v_lshlrev_b32_e32 v75, 4, v69
	v_mul_u32_u24_sdwa v76, v127, v66 dst_sel:DWORD dst_unused:UNUSED_PAD src0_sel:BYTE_0 src1_sel:DWORD
	v_sub_nc_u16 v128, v64, v67
	s_clause 0x1
	global_load_dwordx4 v[67:70], v75, s[8:9] offset:16
	global_load_dwordx4 v[71:74], v75, s[8:9]
	v_lshlrev_b32_e32 v85, 4, v76
	v_mul_u32_u24_sdwa v86, v128, v66 dst_sel:DWORD dst_unused:UNUSED_PAD src0_sel:BYTE_0 src1_sel:DWORD
	s_clause 0x1
	global_load_dwordx4 v[75:78], v75, s[8:9] offset:32
	global_load_dwordx4 v[79:82], v85, s[8:9]
	v_lshlrev_b32_e32 v86, 4, v86
	s_clause 0x4
	global_load_dwordx4 v[88:91], v85, s[8:9] offset:16
	global_load_dwordx4 v[92:95], v85, s[8:9] offset:32
	global_load_dwordx4 v[96:99], v86, s[8:9]
	global_load_dwordx4 v[100:103], v86, s[8:9] offset:16
	global_load_dwordx4 v[104:107], v86, s[8:9] offset:32
	s_waitcnt vmcnt(0) lgkmcnt(0)
	s_barrier
	buffer_gl0_inv
	v_mul_f64 v[108:109], v[46:47], v[69:70]
	v_mul_f64 v[85:86], v[58:59], v[73:74]
	;; [unrolled: 1-line block ×18, first 2 shown]
	v_fma_f64 v[44:45], v[44:45], v[67:68], -v[108:109]
	v_fma_f64 v[56:57], v[56:57], v[71:72], -v[85:86]
	v_fma_f64 v[58:59], v[58:59], v[71:72], v[73:74]
	v_fma_f64 v[46:47], v[46:47], v[67:68], v[69:70]
	v_and_b32_e32 v85, 0xffff, v126
	v_fma_f64 v[60:61], v[60:61], v[75:76], -v[110:111]
	v_fma_f64 v[62:63], v[62:63], v[75:76], v[77:78]
	v_fma_f64 v[48:49], v[48:49], v[79:80], -v[112:113]
	v_fma_f64 v[50:51], v[50:51], v[79:80], v[81:82]
	v_fma_f64 v[28:29], v[28:29], v[88:89], -v[114:115]
	v_fma_f64 v[30:31], v[30:31], v[88:89], v[90:91]
	v_fma_f64 v[52:53], v[52:53], v[92:93], -v[116:117]
	v_fma_f64 v[54:55], v[54:55], v[92:93], v[94:95]
	v_fma_f64 v[32:33], v[32:33], v[96:97], -v[118:119]
	v_fma_f64 v[34:35], v[34:35], v[96:97], v[98:99]
	v_fma_f64 v[36:37], v[36:37], v[100:101], -v[120:121]
	v_fma_f64 v[38:39], v[38:39], v[100:101], v[102:103]
	v_fma_f64 v[40:41], v[40:41], v[104:105], -v[122:123]
	v_fma_f64 v[42:43], v[42:43], v[104:105], v[106:107]
	v_add_f64 v[44:45], v[16:17], -v[44:45]
	v_add_f64 v[46:47], v[18:19], -v[46:47]
	v_add_f64 v[60:61], v[56:57], -v[60:61]
	v_add_f64 v[62:63], v[58:59], -v[62:63]
	v_add_f64 v[67:68], v[20:21], -v[28:29]
	v_add_f64 v[69:70], v[22:23], -v[30:31]
	v_add_f64 v[28:29], v[48:49], -v[52:53]
	v_add_f64 v[30:31], v[50:51], -v[54:55]
	v_add_f64 v[71:72], v[24:25], -v[36:37]
	v_add_f64 v[73:74], v[26:27], -v[38:39]
	v_add_f64 v[52:53], v[32:33], -v[40:41]
	v_add_f64 v[36:37], v[34:35], -v[42:43]
	v_fma_f64 v[54:55], v[16:17], 2.0, -v[44:45]
	v_fma_f64 v[75:76], v[18:19], 2.0, -v[46:47]
	;; [unrolled: 1-line block ×8, first 2 shown]
	v_add_f64 v[20:21], v[44:45], -v[62:63]
	v_add_f64 v[22:23], v[46:47], v[60:61]
	v_fma_f64 v[79:80], v[24:25], 2.0, -v[71:72]
	v_fma_f64 v[81:82], v[26:27], 2.0, -v[73:74]
	;; [unrolled: 1-line block ×4, first 2 shown]
	v_add_f64 v[24:25], v[67:68], -v[30:31]
	v_add_f64 v[26:27], v[69:70], v[28:29]
	v_add_f64 v[32:33], v[71:72], -v[36:37]
	v_add_f64 v[28:29], v[54:55], -v[16:17]
	;; [unrolled: 1-line block ×3, first 2 shown]
	v_and_b32_e32 v19, 0xffff, v83
	v_mov_b32_e32 v16, 4
	v_add_nc_u32_e32 v17, 0xcc, v84
	v_mov_b32_e32 v18, 0xf0f1
	v_add_f64 v[36:37], v[58:59], -v[38:39]
	v_add_f64 v[38:39], v[77:78], -v[40:41]
	v_fma_f64 v[44:45], v[44:45], 2.0, -v[20:21]
	v_fma_f64 v[46:47], v[46:47], 2.0, -v[22:23]
	v_mad_u32_u24 v83, 0x440, v19, 0
	v_and_b32_e32 v19, 0xffff, v124
	v_add_f64 v[40:41], v[79:80], -v[42:43]
	v_add_f64 v[42:43], v[81:82], -v[34:35]
	v_add_f64 v[34:35], v[73:74], v[52:53]
	v_fma_f64 v[48:49], v[67:68], 2.0, -v[24:25]
	v_fma_f64 v[50:51], v[69:70], 2.0, -v[26:27]
	;; [unrolled: 1-line block ×3, first 2 shown]
	v_lshlrev_b32_sdwa v86, v16, v125 dst_sel:DWORD dst_unused:UNUSED_PAD src0_sel:DWORD src1_sel:BYTE_0
	v_mad_u32_u24 v71, 0x440, v19, 0
	v_mad_u32_u24 v72, 0x440, v85, 0
	v_mul_u32_u24_sdwa v19, v17, v18 dst_sel:DWORD dst_unused:UNUSED_PAD src0_sel:WORD_0 src1_sel:DWORD
	v_fma_f64 v[52:53], v[54:55], 2.0, -v[28:29]
	v_fma_f64 v[54:55], v[75:76], 2.0, -v[30:31]
	v_add3_u32 v75, v83, v86, v191
	v_fma_f64 v[60:61], v[58:59], 2.0, -v[36:37]
	v_fma_f64 v[62:63], v[77:78], 2.0, -v[38:39]
	;; [unrolled: 1-line block ×5, first 2 shown]
	v_lshlrev_b32_sdwa v73, v16, v127 dst_sel:DWORD dst_unused:UNUSED_PAD src0_sel:DWORD src1_sel:BYTE_0
	v_lshlrev_b32_sdwa v74, v16, v128 dst_sel:DWORD dst_unused:UNUSED_PAD src0_sel:DWORD src1_sel:BYTE_0
	v_add3_u32 v71, v71, v73, v191
	v_add3_u32 v72, v72, v74, v191
	ds_write_b128 v75, v[20:23] offset:816
	ds_write_b128 v75, v[44:47] offset:272
	;; [unrolled: 1-line block ×3, first 2 shown]
	ds_write_b128 v75, v[52:55]
	ds_write_b128 v71, v[48:51] offset:272
	ds_write_b128 v71, v[36:39] offset:544
	;; [unrolled: 1-line block ×3, first 2 shown]
	ds_write_b128 v71, v[60:63]
	ds_write_b128 v72, v[67:70]
	ds_write_b128 v72, v[56:59] offset:272
	ds_write_b128 v72, v[40:43] offset:544
	;; [unrolled: 1-line block ×3, first 2 shown]
	s_and_saveexec_b32 s1, s0
	s_cbranch_execz .LBB0_16
; %bb.15:
	v_lshrrev_b32_e32 v20, 20, v19
	v_mul_lo_u16 v20, v20, 17
	v_sub_nc_u16 v38, v17, v20
	v_mul_u32_u24_sdwa v20, v38, v66 dst_sel:DWORD dst_unused:UNUSED_PAD src0_sel:WORD_0 src1_sel:DWORD
	v_lshlrev_b32_e32 v28, 4, v20
	s_clause 0x2
	global_load_dwordx4 v[20:23], v28, s[8:9] offset:16
	global_load_dwordx4 v[24:27], v28, s[8:9]
	global_load_dwordx4 v[28:31], v28, s[8:9] offset:32
	s_waitcnt vmcnt(2)
	v_mul_f64 v[32:33], v[4:5], v[22:23]
	s_waitcnt vmcnt(1)
	v_mul_f64 v[34:35], v[10:11], v[26:27]
	v_mul_f64 v[26:27], v[8:9], v[26:27]
	s_waitcnt vmcnt(0)
	v_mul_f64 v[36:37], v[0:1], v[30:31]
	v_mul_f64 v[22:23], v[6:7], v[22:23]
	;; [unrolled: 1-line block ×3, first 2 shown]
	v_fma_f64 v[6:7], v[6:7], v[20:21], v[32:33]
	v_fma_f64 v[8:9], v[8:9], v[24:25], -v[34:35]
	v_fma_f64 v[10:11], v[10:11], v[24:25], v[26:27]
	v_fma_f64 v[2:3], v[2:3], v[28:29], v[36:37]
	v_fma_f64 v[4:5], v[4:5], v[20:21], -v[22:23]
	v_fma_f64 v[0:1], v[0:1], v[28:29], -v[30:31]
	v_add_f64 v[20:21], v[14:15], -v[6:7]
	v_add_f64 v[6:7], v[10:11], -v[2:3]
	v_add_f64 v[22:23], v[12:13], -v[4:5]
	v_add_f64 v[0:1], v[8:9], -v[0:1]
	v_fma_f64 v[14:15], v[14:15], 2.0, -v[20:21]
	v_fma_f64 v[4:5], v[10:11], 2.0, -v[6:7]
	;; [unrolled: 1-line block ×4, first 2 shown]
	v_add_f64 v[2:3], v[20:21], v[0:1]
	v_add_f64 v[0:1], v[22:23], -v[6:7]
	v_add_f64 v[6:7], v[14:15], -v[4:5]
	;; [unrolled: 1-line block ×3, first 2 shown]
	v_and_b32_e32 v8, 0xff, v17
	v_fma_f64 v[10:11], v[20:21], 2.0, -v[2:3]
	v_lshlrev_b32_sdwa v21, v16, v38 dst_sel:DWORD dst_unused:UNUSED_PAD src0_sel:DWORD src1_sel:WORD_0
	v_mul_lo_u16 v24, 0xf1, v8
	v_fma_f64 v[8:9], v[22:23], 2.0, -v[0:1]
	v_lshrrev_b16 v20, 12, v24
	v_and_b32_e32 v20, 0xffff, v20
	v_fma_f64 v[14:15], v[14:15], 2.0, -v[6:7]
	v_mad_u32_u24 v20, 0x440, v20, 0
	v_fma_f64 v[12:13], v[12:13], 2.0, -v[4:5]
	v_add3_u32 v20, v20, v21, v191
	ds_write_b128 v20, v[8:11] offset:272
	ds_write_b128 v20, v[4:7] offset:544
	ds_write_b128 v20, v[12:15]
	ds_write_b128 v20, v[0:3] offset:816
.LBB0_16:
	s_or_b32 exec_lo, exec_lo, s1
	v_add_nc_u32_e32 v2, 0x110, v84
	v_add_nc_u32_e32 v3, 0x154, v84
	;; [unrolled: 1-line block ×3, first 2 shown]
	v_mul_lo_u16 v5, 0x79, v65
	v_lshrrev_b32_e32 v6, 22, v19
	v_mul_u32_u24_sdwa v7, v2, v18 dst_sel:DWORD dst_unused:UNUSED_PAD src0_sel:WORD_0 src1_sel:DWORD
	v_mov_b32_e32 v85, 0
	v_mul_u32_u24_sdwa v10, v3, v18 dst_sel:DWORD dst_unused:UNUSED_PAD src0_sel:WORD_0 src1_sel:DWORD
	v_lshrrev_b16 v5, 13, v5
	v_mul_lo_u16 v6, 0x44, v6
	v_mul_u32_u24_sdwa v11, v4, v18 dst_sel:DWORD dst_unused:UNUSED_PAD src0_sel:WORD_0 src1_sel:DWORD
	v_lshrrev_b32_e32 v7, 22, v7
	v_lshlrev_b64 v[8:9], 4, v[84:85]
	v_lshrrev_b32_e32 v10, 22, v10
	v_mul_lo_u16 v5, 0x44, v5
	v_sub_nc_u16 v6, v17, v6
	v_lshrrev_b32_e32 v11, 22, v11
	v_mul_lo_u16 v7, 0x44, v7
	v_mul_lo_u16 v10, 0x44, v10
	v_add_co_u32 v0, s0, s8, v8
	v_sub_nc_u16 v5, v64, v5
	v_lshlrev_b32_sdwa v100, v16, v6 dst_sel:DWORD dst_unused:UNUSED_PAD src0_sel:DWORD src1_sel:WORD_0
	v_mul_lo_u16 v6, 0x44, v11
	v_add_co_ci_u32_e64 v1, s0, s9, v9, s0
	v_sub_nc_u16 v7, v2, v7
	v_sub_nc_u16 v10, v3, v10
	v_lshlrev_b32_sdwa v101, v16, v5 dst_sel:DWORD dst_unused:UNUSED_PAD src0_sel:DWORD src1_sel:BYTE_0
	v_sub_nc_u16 v14, v4, v6
	s_waitcnt lgkmcnt(0)
	s_barrier
	buffer_gl0_inv
	global_load_dwordx4 v[0:3], v[0:1], off offset:816
	v_lshlrev_b32_sdwa v102, v16, v7 dst_sel:DWORD dst_unused:UNUSED_PAD src0_sel:DWORD src1_sel:WORD_0
	global_load_dwordx4 v[4:7], v100, s[8:9] offset:816
	v_lshlrev_b32_sdwa v103, v16, v10 dst_sel:DWORD dst_unused:UNUSED_PAD src0_sel:DWORD src1_sel:WORD_0
	global_load_dwordx4 v[10:13], v101, s[8:9] offset:816
	v_lshlrev_b32_sdwa v104, v16, v14 dst_sel:DWORD dst_unused:UNUSED_PAD src0_sel:DWORD src1_sel:WORD_0
	s_clause 0x2
	global_load_dwordx4 v[14:17], v102, s[8:9] offset:816
	global_load_dwordx4 v[18:21], v103, s[8:9] offset:816
	;; [unrolled: 1-line block ×3, first 2 shown]
	ds_read_b128 v[26:29], v174 offset:7616
	ds_read_b128 v[30:33], v174 offset:8704
	;; [unrolled: 1-line block ×8, first 2 shown]
	ds_read_b128 v[58:61], v87
	ds_read_b128 v[62:65], v174 offset:1088
	ds_read_b128 v[66:69], v174 offset:2176
	;; [unrolled: 1-line block ×5, first 2 shown]
	s_waitcnt vmcnt(0) lgkmcnt(0)
	s_barrier
	buffer_gl0_inv
	s_mov_b32 s10, 0x37e14327
	s_mov_b32 s16, 0xe976ee23
	s_mov_b32 s11, 0x3fe948f6
	s_mov_b32 s17, 0xbfe11646
	s_mov_b32 s4, 0x429ad128
	s_mov_b32 s5, 0x3febfeb5
	s_mov_b32 s6, 0xaaaaaaaa
	s_mov_b32 s14, 0x5476071b
	s_mov_b32 s20, 0xb247c609
	s_mov_b32 s7, 0xbff2aaaa
	s_mov_b32 s15, 0x3fe77f67
	s_mov_b32 s13, 0xbfe77f67
	s_mov_b32 s21, 0x3fd5d0dc
	s_mov_b32 s12, s14
	s_mov_b32 s23, 0xbfd5d0dc
	s_mov_b32 s22, s20
	s_mov_b32 s18, 0x37c3f68c
	s_mov_b32 s19, 0x3fdc38aa
	v_mul_f64 v[82:83], v[28:29], v[2:3]
	v_mul_f64 v[85:86], v[26:27], v[2:3]
	;; [unrolled: 1-line block ×14, first 2 shown]
	v_fma_f64 v[26:27], v[26:27], v[0:1], -v[82:83]
	v_fma_f64 v[28:29], v[28:29], v[0:1], v[85:86]
	v_fma_f64 v[30:31], v[30:31], v[0:1], -v[88:89]
	v_fma_f64 v[32:33], v[32:33], v[0:1], v[2:3]
	;; [unrolled: 2-line block ×7, first 2 shown]
	v_add_f64 v[0:1], v[58:59], -v[26:27]
	v_add_f64 v[2:3], v[60:61], -v[28:29]
	;; [unrolled: 1-line block ×14, first 2 shown]
	v_mul_u32_u24_e32 v30, 6, v84
	v_lshlrev_b32_e32 v82, 4, v30
	v_fma_f64 v[30:31], v[58:59], 2.0, -v[0:1]
	v_fma_f64 v[32:33], v[60:61], 2.0, -v[2:3]
	;; [unrolled: 1-line block ×14, first 2 shown]
	v_add3_u32 v58, 0, v100, v191
	v_add3_u32 v59, 0, v101, v191
	v_add3_u32 v60, 0, v102, v191
	v_add3_u32 v61, 0, v103, v191
	v_add3_u32 v62, 0, v104, v191
	ds_write_b128 v174, v[0:3] offset:1088
	ds_write_b128 v174, v[4:7] offset:3264
	;; [unrolled: 1-line block ×7, first 2 shown]
	ds_write_b128 v174, v[30:33]
	ds_write_b128 v174, v[34:37] offset:2176
	ds_write_b128 v58, v[38:41] offset:6528
	;; [unrolled: 1-line block ×6, first 2 shown]
	v_add_co_u32 v18, s0, s8, v82
	v_add_co_ci_u32_e64 v19, null, s9, 0, s0
	s_waitcnt lgkmcnt(0)
	s_barrier
	buffer_gl0_inv
	s_clause 0x3
	global_load_dwordx4 v[0:3], v82, s[8:9] offset:1920
	global_load_dwordx4 v[4:7], v82, s[8:9] offset:1904
	global_load_dwordx4 v[10:13], v82, s[8:9] offset:1936
	global_load_dwordx4 v[14:17], v82, s[8:9] offset:1984
	v_add_co_u32 v46, s0, 0x1980, v18
	v_add_co_ci_u32_e64 v47, s0, 0, v19, s0
	s_clause 0x7
	global_load_dwordx4 v[18:21], v82, s[8:9] offset:1968
	global_load_dwordx4 v[22:25], v82, s[8:9] offset:1952
	global_load_dwordx4 v[26:29], v[46:47], off offset:1904
	global_load_dwordx4 v[30:33], v[46:47], off offset:1920
	;; [unrolled: 1-line block ×6, first 2 shown]
	ds_read_b128 v[50:53], v174 offset:2176
	ds_read_b128 v[54:57], v174 offset:4352
	;; [unrolled: 1-line block ×12, first 2 shown]
	s_mov_b32 s0, 0x36b3c0b5
	s_mov_b32 s1, 0x3fac98ee
	s_waitcnt vmcnt(11) lgkmcnt(10)
	v_mul_f64 v[85:86], v[56:57], v[2:3]
	s_waitcnt vmcnt(10)
	v_mul_f64 v[82:83], v[52:53], v[6:7]
	v_mul_f64 v[6:7], v[50:51], v[6:7]
	;; [unrolled: 1-line block ×3, first 2 shown]
	s_waitcnt vmcnt(8) lgkmcnt(8)
	v_mul_f64 v[106:107], v[64:65], v[16:17]
	v_mul_f64 v[16:17], v[62:63], v[16:17]
	s_waitcnt vmcnt(7) lgkmcnt(7)
	v_mul_f64 v[108:109], v[68:69], v[20:21]
	v_mul_f64 v[20:21], v[66:67], v[20:21]
	;; [unrolled: 1-line block ×4, first 2 shown]
	s_waitcnt vmcnt(6) lgkmcnt(6)
	v_mul_f64 v[110:111], v[72:73], v[24:25]
	v_mul_f64 v[24:25], v[70:71], v[24:25]
	s_waitcnt vmcnt(5) lgkmcnt(5)
	v_mul_f64 v[112:113], v[76:77], v[28:29]
	v_mul_f64 v[28:29], v[74:75], v[28:29]
	;; [unrolled: 3-line block ×5, first 2 shown]
	v_mul_f64 v[116:117], v[90:91], v[36:37]
	v_mul_f64 v[36:37], v[88:89], v[36:37]
	;; [unrolled: 1-line block ×4, first 2 shown]
	v_fma_f64 v[50:51], v[50:51], v[4:5], -v[82:83]
	v_fma_f64 v[52:53], v[52:53], v[4:5], v[6:7]
	v_fma_f64 v[54:55], v[54:55], v[0:1], -v[85:86]
	v_fma_f64 v[56:57], v[56:57], v[0:1], v[2:3]
	;; [unrolled: 2-line block ×12, first 2 shown]
	ds_read_b128 v[0:3], v87
	ds_read_b128 v[4:7], v174 offset:1088
	s_waitcnt lgkmcnt(0)
	v_add_f64 v[44:45], v[50:51], v[62:63]
	v_add_f64 v[58:59], v[52:53], v[14:15]
	;; [unrolled: 1-line block ×4, first 2 shown]
	v_add_f64 v[50:51], v[50:51], -v[62:63]
	v_add_f64 v[14:15], v[52:53], -v[14:15]
	v_add_f64 v[52:53], v[20:21], v[12:13]
	v_add_f64 v[62:63], v[10:11], v[22:23]
	v_add_f64 v[12:13], v[12:13], -v[20:21]
	v_add_f64 v[10:11], v[22:23], -v[10:11]
	v_add_f64 v[20:21], v[24:25], v[28:29]
	v_add_f64 v[22:23], v[26:27], v[38:39]
	;; [unrolled: 4-line block ×3, first 2 shown]
	v_add_f64 v[16:17], v[54:55], -v[16:17]
	v_add_f64 v[18:19], v[56:57], -v[18:19]
	;; [unrolled: 1-line block ×4, first 2 shown]
	v_add_f64 v[40:41], v[48:49], v[36:37]
	v_add_f64 v[46:47], v[34:35], v[42:43]
	v_add_f64 v[36:37], v[36:37], -v[48:49]
	v_add_f64 v[34:35], v[42:43], -v[34:35]
	v_add_f64 v[42:43], v[60:61], v[44:45]
	v_add_f64 v[48:49], v[64:65], v[58:59]
	v_add_f64 v[54:55], v[60:61], -v[44:45]
	v_add_f64 v[56:57], v[64:65], -v[58:59]
	;; [unrolled: 1-line block ×6, first 2 shown]
	s_barrier
	buffer_gl0_inv
	v_add_f64 v[74:75], v[28:29], v[20:21]
	v_add_f64 v[76:77], v[38:39], v[22:23]
	;; [unrolled: 1-line block ×4, first 2 shown]
	v_add_f64 v[70:71], v[12:13], -v[16:17]
	v_add_f64 v[72:73], v[10:11], -v[18:19]
	;; [unrolled: 1-line block ×6, first 2 shown]
	v_add_f64 v[42:43], v[52:53], v[42:43]
	v_add_f64 v[48:49], v[62:63], v[48:49]
	v_add_f64 v[20:21], v[20:21], -v[40:41]
	v_add_f64 v[22:23], v[22:23], -v[46:47]
	;; [unrolled: 1-line block ×4, first 2 shown]
	v_add_f64 v[82:83], v[36:37], v[32:33]
	v_add_f64 v[85:86], v[34:35], v[30:31]
	v_add_f64 v[88:89], v[36:37], -v[32:33]
	v_add_f64 v[90:91], v[34:35], -v[30:31]
	;; [unrolled: 1-line block ×4, first 2 shown]
	v_add_f64 v[40:41], v[40:41], v[74:75]
	v_add_f64 v[46:47], v[46:47], v[76:77]
	v_add_f64 v[12:13], v[50:51], -v[12:13]
	v_add_f64 v[10:11], v[14:15], -v[10:11]
	v_add_f64 v[50:51], v[66:67], v[50:51]
	v_add_f64 v[14:15], v[68:69], v[14:15]
	v_mul_f64 v[44:45], v[44:45], s[10:11]
	v_mul_f64 v[52:53], v[58:59], s[10:11]
	;; [unrolled: 1-line block ×6, first 2 shown]
	v_add_f64 v[0:1], v[0:1], v[42:43]
	v_add_f64 v[2:3], v[2:3], v[48:49]
	v_mul_f64 v[70:71], v[16:17], s[4:5]
	v_mul_f64 v[72:73], v[18:19], s[4:5]
	v_add_f64 v[36:37], v[24:25], -v[36:37]
	v_add_f64 v[34:35], v[26:27], -v[34:35]
	v_add_f64 v[24:25], v[82:83], v[24:25]
	v_add_f64 v[26:27], v[85:86], v[26:27]
	v_mul_f64 v[20:21], v[20:21], s[10:11]
	v_mul_f64 v[22:23], v[22:23], s[10:11]
	;; [unrolled: 1-line block ×4, first 2 shown]
	v_add_f64 v[4:5], v[4:5], v[40:41]
	v_add_f64 v[6:7], v[6:7], v[46:47]
	v_mul_f64 v[88:89], v[32:33], s[4:5]
	v_mul_f64 v[90:91], v[30:31], s[4:5]
	;; [unrolled: 1-line block ×4, first 2 shown]
	v_fma_f64 v[60:61], v[60:61], s[0:1], v[44:45]
	v_fma_f64 v[64:65], v[64:65], s[0:1], v[52:53]
	v_fma_f64 v[58:59], v[54:55], s[14:15], -v[58:59]
	v_fma_f64 v[62:63], v[56:57], s[14:15], -v[62:63]
	;; [unrolled: 1-line block ×4, first 2 shown]
	v_fma_f64 v[54:55], v[12:13], s[20:21], v[66:67]
	v_fma_f64 v[56:57], v[10:11], s[20:21], v[68:69]
	;; [unrolled: 1-line block ×4, first 2 shown]
	v_fma_f64 v[16:17], v[16:17], s[4:5], -v[66:67]
	v_fma_f64 v[12:13], v[12:13], s[22:23], -v[70:71]
	;; [unrolled: 1-line block ×4, first 2 shown]
	v_fma_f64 v[28:29], v[28:29], s[0:1], v[20:21]
	v_fma_f64 v[38:39], v[38:39], s[0:1], v[22:23]
	;; [unrolled: 1-line block ×6, first 2 shown]
	v_fma_f64 v[36:37], v[36:37], s[22:23], -v[88:89]
	v_fma_f64 v[34:35], v[34:35], s[22:23], -v[90:91]
	;; [unrolled: 1-line block ×8, first 2 shown]
	v_fma_f64 v[54:55], v[50:51], s[18:19], v[54:55]
	v_fma_f64 v[56:57], v[14:15], s[18:19], v[56:57]
	v_add_f64 v[60:61], v[60:61], v[42:43]
	v_add_f64 v[64:65], v[64:65], v[48:49]
	v_fma_f64 v[74:75], v[50:51], s[18:19], v[16:17]
	v_fma_f64 v[50:51], v[50:51], s[18:19], v[12:13]
	;; [unrolled: 1-line block ×3, first 2 shown]
	v_add_f64 v[44:45], v[44:45], v[42:43]
	v_add_f64 v[52:53], v[52:53], v[48:49]
	v_fma_f64 v[76:77], v[14:15], s[18:19], v[18:19]
	v_add_f64 v[42:43], v[58:59], v[42:43]
	v_add_f64 v[48:49], v[62:63], v[48:49]
	v_fma_f64 v[58:59], v[24:25], s[18:19], v[70:71]
	v_fma_f64 v[62:63], v[26:27], s[18:19], v[72:73]
	v_add_f64 v[85:86], v[28:29], v[40:41]
	v_add_f64 v[88:89], v[38:39], v[46:47]
	v_fma_f64 v[80:81], v[24:25], s[18:19], v[36:37]
	;; [unrolled: 4-line block ×3, first 2 shown]
	v_fma_f64 v[72:73], v[26:27], s[18:19], v[30:31]
	v_add_f64 v[66:67], v[66:67], v[40:41]
	v_add_f64 v[68:69], v[68:69], v[46:47]
	v_add_f64 v[10:11], v[56:57], v[60:61]
	v_add_f64 v[12:13], v[64:65], -v[54:55]
	v_add_f64 v[30:31], v[60:61], -v[56:57]
	v_add_f64 v[32:33], v[54:55], v[64:65]
	s_add_u32 s1, s8, 0x3a70
	v_add_f64 v[14:15], v[78:79], v[44:45]
	v_add_f64 v[16:17], v[52:53], -v[50:51]
	v_add_f64 v[26:27], v[44:45], -v[78:79]
	;; [unrolled: 1-line block ×3, first 2 shown]
	v_add_f64 v[20:21], v[74:75], v[48:49]
	v_add_f64 v[22:23], v[76:77], v[42:43]
	v_add_f64 v[24:25], v[48:49], -v[74:75]
	v_add_f64 v[28:29], v[50:51], v[52:53]
	v_add_f64 v[34:35], v[62:63], v[85:86]
	v_add_f64 v[36:37], v[88:89], -v[58:59]
	v_add_f64 v[54:55], v[85:86], -v[62:63]
	v_add_f64 v[38:39], v[82:83], v[90:91]
	v_add_f64 v[40:41], v[92:93], -v[80:81]
	v_add_f64 v[50:51], v[90:91], -v[82:83]
	v_add_f64 v[52:53], v[80:81], v[92:93]
	v_add_f64 v[42:43], v[66:67], -v[72:73]
	v_add_f64 v[44:45], v[70:71], v[68:69]
	v_add_f64 v[46:47], v[72:73], v[66:67]
	v_add_f64 v[48:49], v[68:69], -v[70:71]
	v_add_f64 v[56:57], v[58:59], v[88:89]
	ds_write_b128 v174, v[0:3]
	ds_write_b128 v174, v[4:7] offset:1088
	ds_write_b128 v174, v[10:13] offset:2176
	;; [unrolled: 1-line block ×13, first 2 shown]
	s_waitcnt lgkmcnt(0)
	s_barrier
	buffer_gl0_inv
	ds_read_b128 v[4:7], v87
	v_sub_nc_u32_e32 v14, v255, v192
	s_addc_u32 s4, s9, 0
	s_mov_b32 s5, exec_lo
                                        ; implicit-def: $vgpr0_vgpr1
                                        ; implicit-def: $vgpr10_vgpr11
                                        ; implicit-def: $vgpr12_vgpr13
	v_cmpx_ne_u32_e32 0, v84
	s_xor_b32 s5, exec_lo, s5
	s_cbranch_execz .LBB0_18
; %bb.17:
	v_add_co_u32 v0, s0, s1, v8
	v_add_co_ci_u32_e64 v1, s0, s4, v9, s0
                                        ; implicit-def: $vgpr255
	global_load_dwordx4 v[15:18], v[0:1], off
	ds_read_b128 v[0:3], v14 offset:15232
	s_waitcnt lgkmcnt(0)
	v_add_f64 v[10:11], v[4:5], -v[0:1]
	v_add_f64 v[12:13], v[6:7], v[2:3]
	v_add_f64 v[2:3], v[6:7], -v[2:3]
	v_add_f64 v[0:1], v[4:5], v[0:1]
	v_mul_f64 v[6:7], v[10:11], 0.5
	v_mul_f64 v[4:5], v[12:13], 0.5
	;; [unrolled: 1-line block ×3, first 2 shown]
	s_waitcnt vmcnt(0)
	v_mul_f64 v[10:11], v[6:7], v[17:18]
	v_fma_f64 v[12:13], v[4:5], v[17:18], v[2:3]
	v_fma_f64 v[2:3], v[4:5], v[17:18], -v[2:3]
	v_fma_f64 v[19:20], v[0:1], 0.5, v[10:11]
	v_fma_f64 v[0:1], v[0:1], 0.5, -v[10:11]
	v_fma_f64 v[12:13], -v[15:16], v[6:7], v[12:13]
	v_fma_f64 v[2:3], -v[15:16], v[6:7], v[2:3]
	v_fma_f64 v[10:11], v[4:5], v[15:16], v[19:20]
	v_fma_f64 v[0:1], -v[4:5], v[15:16], v[0:1]
                                        ; implicit-def: $vgpr4_vgpr5
.LBB0_18:
	s_andn2_saveexec_b32 s0, s5
	s_cbranch_execz .LBB0_20
; %bb.19:
	ds_read_b64 v[15:16], v255 offset:7624
	s_waitcnt lgkmcnt(1)
	v_add_f64 v[10:11], v[4:5], v[6:7]
	v_add_f64 v[0:1], v[4:5], -v[6:7]
	v_mov_b32_e32 v12, 0
	v_mov_b32_e32 v13, 0
	;; [unrolled: 1-line block ×4, first 2 shown]
	s_waitcnt lgkmcnt(0)
	v_xor_b32_e32 v16, 0x80000000, v16
	ds_write_b64 v255, v[15:16] offset:7624
.LBB0_20:
	s_or_b32 exec_lo, exec_lo, s0
	v_add_co_u32 v23, s0, s1, v8
	v_add_co_ci_u32_e64 v24, s0, s4, v9, s0
	v_add_co_u32 v19, s0, 0x800, v23
	s_waitcnt lgkmcnt(0)
	global_load_dwordx4 v[4:7], v[23:24], off offset:1088
	v_add_co_ci_u32_e64 v20, s0, 0, v24, s0
	global_load_dwordx4 v[15:18], v[19:20], off offset:128
	ds_write2_b64 v87, v[10:11], v[12:13] offset1:1
	ds_write_b128 v14, v[0:3] offset:15232
	ds_read_b128 v[0:3], v87 offset:1088
	ds_read_b128 v[10:13], v14 offset:14144
	global_load_dwordx4 v[19:22], v[19:20], off offset:1216
	s_waitcnt lgkmcnt(0)
	v_add_f64 v[25:26], v[0:1], -v[10:11]
	v_add_f64 v[27:28], v[2:3], v[12:13]
	v_add_f64 v[2:3], v[2:3], -v[12:13]
	v_add_f64 v[0:1], v[0:1], v[10:11]
	v_mul_f64 v[12:13], v[25:26], 0.5
	v_mul_f64 v[25:26], v[27:28], 0.5
	;; [unrolled: 1-line block ×3, first 2 shown]
	s_waitcnt vmcnt(2)
	v_mul_f64 v[10:11], v[12:13], v[6:7]
	v_fma_f64 v[27:28], v[25:26], v[6:7], v[2:3]
	v_fma_f64 v[2:3], v[25:26], v[6:7], -v[2:3]
	v_fma_f64 v[6:7], v[0:1], 0.5, v[10:11]
	v_fma_f64 v[0:1], v[0:1], 0.5, -v[10:11]
	v_fma_f64 v[10:11], -v[4:5], v[12:13], v[27:28]
	v_fma_f64 v[2:3], -v[4:5], v[12:13], v[2:3]
	v_fma_f64 v[6:7], v[25:26], v[4:5], v[6:7]
	v_fma_f64 v[0:1], -v[25:26], v[4:5], v[0:1]
	v_add_co_u32 v25, s0, 0x1000, v23
	v_add_co_ci_u32_e64 v26, s0, 0, v24, s0
	ds_write2_b64 v87, v[6:7], v[10:11] offset0:136 offset1:137
	ds_write_b128 v14, v[0:3] offset:14144
	ds_read_b128 v[0:3], v87 offset:2176
	ds_read_b128 v[4:7], v14 offset:13056
	global_load_dwordx4 v[10:13], v[25:26], off offset:256
	s_waitcnt lgkmcnt(0)
	v_add_f64 v[27:28], v[0:1], -v[4:5]
	v_add_f64 v[29:30], v[2:3], v[6:7]
	v_add_f64 v[2:3], v[2:3], -v[6:7]
	v_add_f64 v[0:1], v[0:1], v[4:5]
	v_mul_f64 v[6:7], v[27:28], 0.5
	v_mul_f64 v[27:28], v[29:30], 0.5
	;; [unrolled: 1-line block ×3, first 2 shown]
	s_waitcnt vmcnt(2)
	v_mul_f64 v[4:5], v[6:7], v[17:18]
	v_fma_f64 v[29:30], v[27:28], v[17:18], v[2:3]
	v_fma_f64 v[2:3], v[27:28], v[17:18], -v[2:3]
	v_fma_f64 v[17:18], v[0:1], 0.5, v[4:5]
	v_fma_f64 v[0:1], v[0:1], 0.5, -v[4:5]
	v_fma_f64 v[4:5], -v[15:16], v[6:7], v[29:30]
	v_fma_f64 v[2:3], -v[15:16], v[6:7], v[2:3]
	v_add_nc_u32_e32 v29, 0x800, v87
	v_fma_f64 v[6:7], v[27:28], v[15:16], v[17:18]
	v_fma_f64 v[0:1], -v[27:28], v[15:16], v[0:1]
	ds_write2_b64 v29, v[6:7], v[4:5] offset0:16 offset1:17
	ds_write_b128 v14, v[0:3] offset:13056
	ds_read_b128 v[0:3], v87 offset:3264
	ds_read_b128 v[4:7], v14 offset:11968
	global_load_dwordx4 v[15:18], v[25:26], off offset:1344
	s_waitcnt lgkmcnt(0)
	v_add_f64 v[25:26], v[0:1], -v[4:5]
	v_add_f64 v[27:28], v[2:3], v[6:7]
	v_add_f64 v[2:3], v[2:3], -v[6:7]
	v_add_f64 v[0:1], v[0:1], v[4:5]
	v_mul_f64 v[6:7], v[25:26], 0.5
	v_mul_f64 v[25:26], v[27:28], 0.5
	;; [unrolled: 1-line block ×3, first 2 shown]
	s_waitcnt vmcnt(2)
	v_mul_f64 v[4:5], v[6:7], v[21:22]
	v_fma_f64 v[27:28], v[25:26], v[21:22], v[2:3]
	v_fma_f64 v[2:3], v[25:26], v[21:22], -v[2:3]
	v_fma_f64 v[21:22], v[0:1], 0.5, v[4:5]
	v_fma_f64 v[0:1], v[0:1], 0.5, -v[4:5]
	v_fma_f64 v[4:5], -v[19:20], v[6:7], v[27:28]
	v_fma_f64 v[2:3], -v[19:20], v[6:7], v[2:3]
	v_fma_f64 v[6:7], v[25:26], v[19:20], v[21:22]
	v_fma_f64 v[0:1], -v[25:26], v[19:20], v[0:1]
	v_add_co_u32 v19, s0, 0x1800, v23
	v_add_co_ci_u32_e64 v20, s0, 0, v24, s0
	ds_write2_b64 v29, v[6:7], v[4:5] offset0:152 offset1:153
	ds_write_b128 v14, v[0:3] offset:11968
	ds_read_b128 v[0:3], v87 offset:4352
	ds_read_b128 v[4:7], v14 offset:10880
	global_load_dwordx4 v[19:22], v[19:20], off offset:384
	s_waitcnt lgkmcnt(0)
	v_add_f64 v[23:24], v[0:1], -v[4:5]
	v_add_f64 v[25:26], v[2:3], v[6:7]
	v_add_f64 v[2:3], v[2:3], -v[6:7]
	v_add_f64 v[0:1], v[0:1], v[4:5]
	v_mul_f64 v[6:7], v[23:24], 0.5
	v_mul_f64 v[23:24], v[25:26], 0.5
	;; [unrolled: 1-line block ×3, first 2 shown]
	s_waitcnt vmcnt(2)
	v_mul_f64 v[4:5], v[6:7], v[12:13]
	v_fma_f64 v[25:26], v[23:24], v[12:13], v[2:3]
	v_fma_f64 v[2:3], v[23:24], v[12:13], -v[2:3]
	v_fma_f64 v[12:13], v[0:1], 0.5, v[4:5]
	v_fma_f64 v[0:1], v[0:1], 0.5, -v[4:5]
	v_fma_f64 v[4:5], -v[10:11], v[6:7], v[25:26]
	v_fma_f64 v[2:3], -v[10:11], v[6:7], v[2:3]
	v_fma_f64 v[6:7], v[23:24], v[10:11], v[12:13]
	v_fma_f64 v[0:1], -v[23:24], v[10:11], v[0:1]
	v_add_nc_u32_e32 v23, 0x1000, v87
	ds_write2_b64 v23, v[6:7], v[4:5] offset0:32 offset1:33
	ds_write_b128 v14, v[0:3] offset:10880
	ds_read_b128 v[0:3], v87 offset:5440
	ds_read_b128 v[4:7], v14 offset:9792
	s_waitcnt lgkmcnt(0)
	v_add_f64 v[10:11], v[0:1], -v[4:5]
	v_add_f64 v[12:13], v[2:3], v[6:7]
	v_add_f64 v[2:3], v[2:3], -v[6:7]
	v_add_f64 v[0:1], v[0:1], v[4:5]
	v_mul_f64 v[6:7], v[10:11], 0.5
	v_mul_f64 v[10:11], v[12:13], 0.5
	;; [unrolled: 1-line block ×3, first 2 shown]
	s_waitcnt vmcnt(1)
	v_mul_f64 v[4:5], v[6:7], v[17:18]
	v_fma_f64 v[12:13], v[10:11], v[17:18], v[2:3]
	v_fma_f64 v[2:3], v[10:11], v[17:18], -v[2:3]
	v_fma_f64 v[17:18], v[0:1], 0.5, v[4:5]
	v_fma_f64 v[0:1], v[0:1], 0.5, -v[4:5]
	v_fma_f64 v[4:5], -v[15:16], v[6:7], v[12:13]
	v_fma_f64 v[2:3], -v[15:16], v[6:7], v[2:3]
	v_fma_f64 v[6:7], v[10:11], v[15:16], v[17:18]
	v_fma_f64 v[0:1], -v[10:11], v[15:16], v[0:1]
	ds_write2_b64 v23, v[6:7], v[4:5] offset0:168 offset1:169
	ds_write_b128 v14, v[0:3] offset:9792
	ds_read_b128 v[0:3], v87 offset:6528
	ds_read_b128 v[4:7], v14 offset:8704
	s_waitcnt lgkmcnt(0)
	v_add_f64 v[10:11], v[0:1], -v[4:5]
	v_add_f64 v[12:13], v[2:3], v[6:7]
	v_add_f64 v[2:3], v[2:3], -v[6:7]
	v_add_f64 v[0:1], v[0:1], v[4:5]
	v_mul_f64 v[6:7], v[10:11], 0.5
	v_mul_f64 v[10:11], v[12:13], 0.5
	v_mul_f64 v[2:3], v[2:3], 0.5
	s_waitcnt vmcnt(0)
	v_mul_f64 v[4:5], v[6:7], v[21:22]
	v_fma_f64 v[12:13], v[10:11], v[21:22], v[2:3]
	v_fma_f64 v[2:3], v[10:11], v[21:22], -v[2:3]
	v_fma_f64 v[15:16], v[0:1], 0.5, v[4:5]
	v_fma_f64 v[0:1], v[0:1], 0.5, -v[4:5]
	v_fma_f64 v[4:5], -v[19:20], v[6:7], v[12:13]
	v_fma_f64 v[2:3], -v[19:20], v[6:7], v[2:3]
	v_fma_f64 v[6:7], v[10:11], v[19:20], v[15:16]
	v_fma_f64 v[0:1], -v[10:11], v[19:20], v[0:1]
	v_add_nc_u32_e32 v10, 0x1800, v87
	ds_write2_b64 v10, v[6:7], v[4:5] offset0:48 offset1:49
	ds_write_b128 v14, v[0:3] offset:8704
	s_waitcnt lgkmcnt(0)
	s_barrier
	buffer_gl0_inv
	s_and_saveexec_b32 s0, vcc_lo
	s_cbranch_execz .LBB0_23
; %bb.21:
	ds_read_b128 v[2:5], v87
	ds_read_b128 v[10:13], v87 offset:1088
	ds_read_b128 v[14:17], v87 offset:2176
	;; [unrolled: 1-line block ×3, first 2 shown]
	v_add_co_u32 v0, vcc_lo, s2, v179
	v_add_co_ci_u32_e32 v1, vcc_lo, s3, v180, vcc_lo
	v_add_co_u32 v42, vcc_lo, v0, v8
	v_add_co_ci_u32_e32 v43, vcc_lo, v1, v9, vcc_lo
	;; [unrolled: 2-line block ×4, first 2 shown]
	v_add_co_u32 v46, vcc_lo, 0x1800, v42
	s_waitcnt lgkmcnt(3)
	global_store_dwordx4 v[42:43], v[2:5], off
	s_waitcnt lgkmcnt(2)
	global_store_dwordx4 v[42:43], v[10:13], off offset:1088
	s_waitcnt lgkmcnt(1)
	global_store_dwordx4 v[6:7], v[14:17], off offset:128
	s_waitcnt lgkmcnt(0)
	global_store_dwordx4 v[6:7], v[18:21], off offset:1216
	ds_read_b128 v[2:5], v87 offset:4352
	ds_read_b128 v[6:9], v87 offset:5440
	;; [unrolled: 1-line block ×10, first 2 shown]
	v_add_co_ci_u32_e32 v47, vcc_lo, 0, v43, vcc_lo
	v_add_co_u32 v48, vcc_lo, 0x2000, v42
	v_add_co_ci_u32_e32 v49, vcc_lo, 0, v43, vcc_lo
	s_waitcnt lgkmcnt(9)
	global_store_dwordx4 v[44:45], v[2:5], off offset:256
	s_waitcnt lgkmcnt(8)
	global_store_dwordx4 v[44:45], v[6:9], off offset:1344
	;; [unrolled: 2-line block ×5, first 2 shown]
	v_add_co_u32 v2, vcc_lo, 0x2800, v42
	v_add_co_ci_u32_e32 v3, vcc_lo, 0, v43, vcc_lo
	v_add_co_u32 v4, vcc_lo, 0x3000, v42
	v_add_co_ci_u32_e32 v5, vcc_lo, 0, v43, vcc_lo
	v_cmp_eq_u32_e32 vcc_lo, 0x43, v84
	s_waitcnt lgkmcnt(4)
	global_store_dwordx4 v[48:49], v[22:25], off offset:1600
	s_waitcnt lgkmcnt(3)
	global_store_dwordx4 v[2:3], v[26:29], off offset:640
	;; [unrolled: 2-line block ×5, first 2 shown]
	s_and_b32 exec_lo, exec_lo, vcc_lo
	s_cbranch_execz .LBB0_23
; %bb.22:
	ds_read_b128 v[2:5], v87 offset:14160
	v_add_co_u32 v0, vcc_lo, 0x3800, v0
	v_add_co_ci_u32_e32 v1, vcc_lo, 0, v1, vcc_lo
	s_waitcnt lgkmcnt(0)
	global_store_dwordx4 v[0:1], v[2:5], off offset:896
.LBB0_23:
	s_endpgm
	.section	.rodata,"a",@progbits
	.p2align	6, 0x0
	.amdhsa_kernel fft_rtc_fwd_len952_factors_17_4_2_7_wgs_204_tpt_68_halfLds_dp_ip_CI_unitstride_sbrr_R2C_dirReg
		.amdhsa_group_segment_fixed_size 0
		.amdhsa_private_segment_fixed_size 124
		.amdhsa_kernarg_size 88
		.amdhsa_user_sgpr_count 6
		.amdhsa_user_sgpr_private_segment_buffer 1
		.amdhsa_user_sgpr_dispatch_ptr 0
		.amdhsa_user_sgpr_queue_ptr 0
		.amdhsa_user_sgpr_kernarg_segment_ptr 1
		.amdhsa_user_sgpr_dispatch_id 0
		.amdhsa_user_sgpr_flat_scratch_init 0
		.amdhsa_user_sgpr_private_segment_size 0
		.amdhsa_wavefront_size32 1
		.amdhsa_uses_dynamic_stack 0
		.amdhsa_system_sgpr_private_segment_wavefront_offset 1
		.amdhsa_system_sgpr_workgroup_id_x 1
		.amdhsa_system_sgpr_workgroup_id_y 0
		.amdhsa_system_sgpr_workgroup_id_z 0
		.amdhsa_system_sgpr_workgroup_info 0
		.amdhsa_system_vgpr_workitem_id 0
		.amdhsa_next_free_vgpr 256
		.amdhsa_next_free_sgpr 60
		.amdhsa_reserve_vcc 1
		.amdhsa_reserve_flat_scratch 0
		.amdhsa_float_round_mode_32 0
		.amdhsa_float_round_mode_16_64 0
		.amdhsa_float_denorm_mode_32 3
		.amdhsa_float_denorm_mode_16_64 3
		.amdhsa_dx10_clamp 1
		.amdhsa_ieee_mode 1
		.amdhsa_fp16_overflow 0
		.amdhsa_workgroup_processor_mode 1
		.amdhsa_memory_ordered 1
		.amdhsa_forward_progress 0
		.amdhsa_shared_vgpr_count 0
		.amdhsa_exception_fp_ieee_invalid_op 0
		.amdhsa_exception_fp_denorm_src 0
		.amdhsa_exception_fp_ieee_div_zero 0
		.amdhsa_exception_fp_ieee_overflow 0
		.amdhsa_exception_fp_ieee_underflow 0
		.amdhsa_exception_fp_ieee_inexact 0
		.amdhsa_exception_int_div_zero 0
	.end_amdhsa_kernel
	.text
.Lfunc_end0:
	.size	fft_rtc_fwd_len952_factors_17_4_2_7_wgs_204_tpt_68_halfLds_dp_ip_CI_unitstride_sbrr_R2C_dirReg, .Lfunc_end0-fft_rtc_fwd_len952_factors_17_4_2_7_wgs_204_tpt_68_halfLds_dp_ip_CI_unitstride_sbrr_R2C_dirReg
                                        ; -- End function
	.section	.AMDGPU.csdata,"",@progbits
; Kernel info:
; codeLenInByte = 16324
; NumSgprs: 62
; NumVgprs: 256
; ScratchSize: 124
; MemoryBound: 0
; FloatMode: 240
; IeeeMode: 1
; LDSByteSize: 0 bytes/workgroup (compile time only)
; SGPRBlocks: 7
; VGPRBlocks: 31
; NumSGPRsForWavesPerEU: 62
; NumVGPRsForWavesPerEU: 256
; Occupancy: 4
; WaveLimiterHint : 1
; COMPUTE_PGM_RSRC2:SCRATCH_EN: 1
; COMPUTE_PGM_RSRC2:USER_SGPR: 6
; COMPUTE_PGM_RSRC2:TRAP_HANDLER: 0
; COMPUTE_PGM_RSRC2:TGID_X_EN: 1
; COMPUTE_PGM_RSRC2:TGID_Y_EN: 0
; COMPUTE_PGM_RSRC2:TGID_Z_EN: 0
; COMPUTE_PGM_RSRC2:TIDIG_COMP_CNT: 0
	.text
	.p2alignl 6, 3214868480
	.fill 48, 4, 3214868480
	.type	__hip_cuid_273c5f7ffa763828,@object ; @__hip_cuid_273c5f7ffa763828
	.section	.bss,"aw",@nobits
	.globl	__hip_cuid_273c5f7ffa763828
__hip_cuid_273c5f7ffa763828:
	.byte	0                               ; 0x0
	.size	__hip_cuid_273c5f7ffa763828, 1

	.ident	"AMD clang version 19.0.0git (https://github.com/RadeonOpenCompute/llvm-project roc-6.4.0 25133 c7fe45cf4b819c5991fe208aaa96edf142730f1d)"
	.section	".note.GNU-stack","",@progbits
	.addrsig
	.addrsig_sym __hip_cuid_273c5f7ffa763828
	.amdgpu_metadata
---
amdhsa.kernels:
  - .args:
      - .actual_access:  read_only
        .address_space:  global
        .offset:         0
        .size:           8
        .value_kind:     global_buffer
      - .offset:         8
        .size:           8
        .value_kind:     by_value
      - .actual_access:  read_only
        .address_space:  global
        .offset:         16
        .size:           8
        .value_kind:     global_buffer
      - .actual_access:  read_only
        .address_space:  global
        .offset:         24
        .size:           8
        .value_kind:     global_buffer
      - .offset:         32
        .size:           8
        .value_kind:     by_value
      - .actual_access:  read_only
        .address_space:  global
        .offset:         40
        .size:           8
        .value_kind:     global_buffer
      - .actual_access:  read_only
        .address_space:  global
        .offset:         48
        .size:           8
        .value_kind:     global_buffer
      - .offset:         56
        .size:           4
        .value_kind:     by_value
      - .actual_access:  read_only
        .address_space:  global
        .offset:         64
        .size:           8
        .value_kind:     global_buffer
      - .actual_access:  read_only
        .address_space:  global
        .offset:         72
        .size:           8
        .value_kind:     global_buffer
      - .address_space:  global
        .offset:         80
        .size:           8
        .value_kind:     global_buffer
    .group_segment_fixed_size: 0
    .kernarg_segment_align: 8
    .kernarg_segment_size: 88
    .language:       OpenCL C
    .language_version:
      - 2
      - 0
    .max_flat_workgroup_size: 204
    .name:           fft_rtc_fwd_len952_factors_17_4_2_7_wgs_204_tpt_68_halfLds_dp_ip_CI_unitstride_sbrr_R2C_dirReg
    .private_segment_fixed_size: 124
    .sgpr_count:     62
    .sgpr_spill_count: 0
    .symbol:         fft_rtc_fwd_len952_factors_17_4_2_7_wgs_204_tpt_68_halfLds_dp_ip_CI_unitstride_sbrr_R2C_dirReg.kd
    .uniform_work_group_size: 1
    .uses_dynamic_stack: false
    .vgpr_count:     256
    .vgpr_spill_count: 32
    .wavefront_size: 32
    .workgroup_processor_mode: 1
amdhsa.target:   amdgcn-amd-amdhsa--gfx1030
amdhsa.version:
  - 1
  - 2
...

	.end_amdgpu_metadata
